;; amdgpu-corpus repo=ROCm/hip-tests kind=compiled arch=gfx950 opt=O3
	.amdgcn_target "amdgcn-amd-amdhsa--gfx950"
	.amdhsa_code_object_version 6
	.section	.text._ZL25kernel_cg_grid_group_typePiS_S_S_P4dim3,"axG",@progbits,_ZL25kernel_cg_grid_group_typePiS_S_S_P4dim3,comdat
	.globl	_ZL25kernel_cg_grid_group_typePiS_S_S_P4dim3 ; -- Begin function _ZL25kernel_cg_grid_group_typePiS_S_S_P4dim3
	.p2align	8
	.type	_ZL25kernel_cg_grid_group_typePiS_S_S_P4dim3,@function
_ZL25kernel_cg_grid_group_typePiS_S_S_P4dim3: ; @_ZL25kernel_cg_grid_group_typePiS_S_S_P4dim3
; %bb.0:
	s_load_dword s5, s[0:1], 0x38
	s_load_dwordx4 s[16:19], s[0:1], 0x28
	s_add_u32 s6, s0, 40
	s_addc_u32 s7, s1, 0
	v_mov_b32_e32 v1, 0
	s_waitcnt lgkmcnt(0)
	s_and_b32 s5, s5, 0xffff
	s_lshr_b32 s20, s19, 16
	s_cmp_lt_u32 s2, s16
	s_cselect_b32 s8, 12, 18
	s_add_u32 s6, s6, s8
	s_addc_u32 s7, s7, 0
	global_load_ushort v5, v1, s[6:7]
	s_mul_i32 s4, s17, s4
	s_load_dwordx8 s[8:15], s[0:1], 0x0
	s_and_b32 s7, s19, 0xffff
	s_add_i32 s3, s4, s3
	v_and_b32_e32 v2, 0x3ff, v0
	s_mul_i32 s6, s18, s5
	s_mul_i32 s4, s2, s7
	;; [unrolled: 1-line block ×3, first 2 shown]
	v_bfe_u32 v3, v0, 20, 10
	v_bfe_u32 v4, v0, 10, 10
	s_mul_i32 s6, s6, s17
	v_add_u32_e32 v0, s4, v2
	s_add_i32 s3, s3, s2
	s_mul_i32 s6, s6, s20
	v_ashrrev_i32_e32 v1, 31, v0
	s_mul_i32 s3, s3, s5
	s_mul_i32 s6, s6, s16
	v_lshlrev_b64 v[6:7], 2, v[0:1]
	v_add_u32_e32 v10, s3, v3
	s_waitcnt lgkmcnt(0)
	v_lshl_add_u64 v[8:9], s[8:9], 0, v[6:7]
	v_lshl_add_u64 v[12:13], s[10:11], 0, v[6:7]
	;; [unrolled: 1-line block ×3, first 2 shown]
	s_waitcnt vmcnt(0)
	v_mad_u64_u32 v[10:11], s[4:5], v10, s20, v[4:5]
	v_mul_lo_u32 v14, s6, v5
	v_mad_u64_u32 v[10:11], s[4:5], v10, v5, v[2:3]
	global_store_dword v[8:9], v14, off
	global_store_dword v[12:13], v10, off
	s_load_dwordx2 s[4:5], s[0:1], 0x80
	v_or_b32_e32 v5, s2, v2
	v_cmp_eq_u32_e64 s[6:7], 0, v5
	v_cmp_ne_u32_e32 vcc, 0, v5
	s_waitcnt lgkmcnt(0)
	s_cmp_lg_u64 s[4:5], 0
	s_cselect_b64 s[8:9], -1, 0
	v_cndmask_b32_e64 v5, 0, 1, s[8:9]
	s_getpc_b64 s[8:9]
	s_add_u32 s8, s8, _ZL2gm.0@rel32@lo+4
	s_addc_u32 s9, s9, _ZL2gm.0@rel32@hi+12
	global_store_dword v[6:7], v5, off
	v_mov_b64_e32 v[6:7], s[8:9]
	s_and_saveexec_b64 s[8:9], vcc
	s_cbranch_execz .LBB0_2
; %bb.1:
	s_cmp_eq_u32 s2, 1
	s_cselect_b64 s[2:3], -1, 0
	v_cmp_eq_u32_e32 vcc, 0, v2
	s_and_b64 s[2:3], s[2:3], vcc
	s_getpc_b64 s[10:11]
	s_add_u32 s10, s10, _ZL2gm.1@rel32@lo+4
	s_addc_u32 s11, s11, _ZL2gm.1@rel32@hi+12
	s_andn2_b64 s[6:7], s[6:7], exec
	s_and_b64 s[2:3], s[2:3], exec
	v_mov_b64_e32 v[6:7], s[10:11]
	s_or_b64 s[6:7], s[6:7], s[2:3]
.LBB0_2:
	s_or_b64 exec, exec, s[8:9]
	s_load_dwordx2 s[0:1], s[0:1], 0x20
	s_and_saveexec_b64 s[2:3], s[6:7]
	s_cbranch_execz .LBB0_4
; %bb.3:
	v_mov_b32_e32 v5, 1
	global_store_byte v[6:7], v5, off
.LBB0_4:
	s_or_b64 exec, exec, s[2:3]
	v_or3_b32 v2, v2, v4, v3
	v_cmp_eq_u32_e32 vcc, 0, v2
	s_waitcnt lgkmcnt(0)
	s_barrier
	s_and_saveexec_b64 s[2:3], vcc
	s_cbranch_execz .LBB0_14
; %bb.5:
	v_mov_b32_e32 v4, 0
	buffer_wbl2 sc1
	s_waitcnt vmcnt(0)
	global_load_dword v2, v4, s[4:5] offset:40
	s_mov_b64 s[6:7], exec
	v_mbcnt_lo_u32_b32 v3, s6, 0
	v_mbcnt_hi_u32_b32 v3, s7, v3
	v_cmp_eq_u32_e32 vcc, 0, v3
                                        ; implicit-def: $vgpr5
	s_and_saveexec_b64 s[8:9], vcc
	s_cbranch_execz .LBB0_7
; %bb.6:
	s_bcnt1_i32_b64 s6, s[6:7]
	v_mov_b32_e32 v5, s6
	global_atomic_add v5, v4, v5, s[4:5] offset:32 sc0
.LBB0_7:
	s_or_b64 exec, exec, s[8:9]
	s_waitcnt vmcnt(0)
	v_readfirstlane_b32 s6, v5
	v_add_u32_e32 v4, -1, v2
	s_nop 0
	v_add_u32_e32 v3, s6, v3
	v_cmp_eq_u32_sdwa s[8:9], v3, v4 src0_sel:WORD_0 src1_sel:DWORD
	s_and_saveexec_b64 s[6:7], s[8:9]
	s_cbranch_execz .LBB0_10
; %bb.8:
	s_mov_b64 s[8:9], exec
	v_mbcnt_lo_u32_b32 v4, s8, 0
	v_mbcnt_hi_u32_b32 v4, s9, v4
	v_cmp_eq_u32_e32 vcc, 0, v4
	s_and_b64 s[10:11], exec, vcc
	s_mov_b64 exec, s[10:11]
	s_cbranch_execz .LBB0_10
; %bb.9:
	v_sub_u32_e32 v2, 0x10000, v2
	s_bcnt1_i32_b64 s8, s[8:9]
	v_mul_lo_u32 v2, v2, s8
	v_mov_b32_e32 v4, 0
	global_atomic_add v4, v2, s[4:5] offset:32
.LBB0_10:
	s_or_b64 exec, exec, s[6:7]
	v_mov_b32_e32 v2, 0
	global_load_dword v4, v2, s[4:5] offset:32 sc1
	v_and_b32_e32 v3, 0xffff0000, v3
	s_waitcnt vmcnt(0)
	v_and_b32_e32 v4, 0xffff0000, v4
	v_cmp_eq_u32_e32 vcc, v4, v3
	s_and_b64 exec, exec, vcc
	s_cbranch_execz .LBB0_13
; %bb.11:
	s_mov_b64 s[6:7], 0
.LBB0_12:                               ; =>This Inner Loop Header: Depth=1
	s_sleep 1
	global_load_dword v4, v2, s[4:5] offset:32 sc1
	s_waitcnt vmcnt(0)
	v_and_b32_e32 v4, 0xffff0000, v4
	v_cmp_ne_u32_e32 vcc, v4, v3
	s_or_b64 s[6:7], vcc, s[6:7]
	s_andn2_b64 exec, exec, s[6:7]
	s_cbranch_execnz .LBB0_12
.LBB0_13:
	buffer_inv sc1
.LBB0_14:
	s_or_b64 exec, exec, s[2:3]
	s_getpc_b64 s[2:3]
	s_add_u32 s2, s2, _ZL2gm.1@rel32@lo+4
	s_addc_u32 s3, s3, _ZL2gm.1@rel32@hi+12
	v_mov_b32_e32 v2, 0
	s_getpc_b64 s[4:5]
	s_add_u32 s4, s4, _ZL2gm.0@rel32@lo+4
	s_addc_u32 s5, s5, _ZL2gm.0@rel32@hi+12
	s_barrier
	global_load_ubyte v5, v2, s[2:3]
	global_load_ubyte v10, v2, s[4:5]
	v_mov_b32_e32 v6, s14
	v_mov_b32_e32 v7, s15
	;; [unrolled: 1-line block ×4, first 2 shown]
	v_lshl_add_u64 v[6:7], v[0:1], 2, v[6:7]
	v_mad_i64_i32 v[0:1], s[0:1], v0, 12, v[8:9]
	v_mov_b32_e32 v2, s16
	v_mov_b32_e32 v3, s17
	;; [unrolled: 1-line block ×3, first 2 shown]
	s_waitcnt vmcnt(1)
	v_and_b32_e32 v5, 1, v5
	s_waitcnt vmcnt(0)
	v_and_b32_e32 v8, 1, v10
	v_cmp_eq_u32_e32 vcc, 1, v5
	s_nop 1
	v_cndmask_b32_e64 v5, 0, 20, vcc
	v_cmp_eq_u32_e32 vcc, 1, v8
	s_nop 1
	v_cndmask_b32_e64 v8, 0, 10, vcc
	v_mul_lo_u32 v5, v8, v5
	global_store_dword v[6:7], v5, off
	global_store_dwordx3 v[0:1], v[2:4], off
	s_endpgm
	.section	.rodata,"a",@progbits
	.p2align	6, 0x0
	.amdhsa_kernel _ZL25kernel_cg_grid_group_typePiS_S_S_P4dim3
		.amdhsa_group_segment_fixed_size 0
		.amdhsa_private_segment_fixed_size 0
		.amdhsa_kernarg_size 296
		.amdhsa_user_sgpr_count 2
		.amdhsa_user_sgpr_dispatch_ptr 0
		.amdhsa_user_sgpr_queue_ptr 0
		.amdhsa_user_sgpr_kernarg_segment_ptr 1
		.amdhsa_user_sgpr_dispatch_id 0
		.amdhsa_user_sgpr_kernarg_preload_length 0
		.amdhsa_user_sgpr_kernarg_preload_offset 0
		.amdhsa_user_sgpr_private_segment_size 0
		.amdhsa_uses_dynamic_stack 0
		.amdhsa_enable_private_segment 0
		.amdhsa_system_sgpr_workgroup_id_x 1
		.amdhsa_system_sgpr_workgroup_id_y 1
		.amdhsa_system_sgpr_workgroup_id_z 1
		.amdhsa_system_sgpr_workgroup_info 0
		.amdhsa_system_vgpr_workitem_id 2
		.amdhsa_next_free_vgpr 15
		.amdhsa_next_free_sgpr 21
		.amdhsa_accum_offset 16
		.amdhsa_reserve_vcc 1
		.amdhsa_float_round_mode_32 0
		.amdhsa_float_round_mode_16_64 0
		.amdhsa_float_denorm_mode_32 3
		.amdhsa_float_denorm_mode_16_64 3
		.amdhsa_dx10_clamp 1
		.amdhsa_ieee_mode 1
		.amdhsa_fp16_overflow 0
		.amdhsa_tg_split 0
		.amdhsa_exception_fp_ieee_invalid_op 0
		.amdhsa_exception_fp_denorm_src 0
		.amdhsa_exception_fp_ieee_div_zero 0
		.amdhsa_exception_fp_ieee_overflow 0
		.amdhsa_exception_fp_ieee_underflow 0
		.amdhsa_exception_fp_ieee_inexact 0
		.amdhsa_exception_int_div_zero 0
	.end_amdhsa_kernel
	.section	.text._ZL25kernel_cg_grid_group_typePiS_S_S_P4dim3,"axG",@progbits,_ZL25kernel_cg_grid_group_typePiS_S_S_P4dim3,comdat
.Lfunc_end0:
	.size	_ZL25kernel_cg_grid_group_typePiS_S_S_P4dim3, .Lfunc_end0-_ZL25kernel_cg_grid_group_typePiS_S_S_P4dim3
                                        ; -- End function
	.set _ZL25kernel_cg_grid_group_typePiS_S_S_P4dim3.num_vgpr, 15
	.set _ZL25kernel_cg_grid_group_typePiS_S_S_P4dim3.num_agpr, 0
	.set _ZL25kernel_cg_grid_group_typePiS_S_S_P4dim3.numbered_sgpr, 21
	.set _ZL25kernel_cg_grid_group_typePiS_S_S_P4dim3.num_named_barrier, 0
	.set _ZL25kernel_cg_grid_group_typePiS_S_S_P4dim3.private_seg_size, 0
	.set _ZL25kernel_cg_grid_group_typePiS_S_S_P4dim3.uses_vcc, 1
	.set _ZL25kernel_cg_grid_group_typePiS_S_S_P4dim3.uses_flat_scratch, 0
	.set _ZL25kernel_cg_grid_group_typePiS_S_S_P4dim3.has_dyn_sized_stack, 0
	.set _ZL25kernel_cg_grid_group_typePiS_S_S_P4dim3.has_recursion, 0
	.set _ZL25kernel_cg_grid_group_typePiS_S_S_P4dim3.has_indirect_call, 0
	.section	.AMDGPU.csdata,"",@progbits
; Kernel info:
; codeLenInByte = 908
; TotalNumSgprs: 27
; NumVgprs: 15
; NumAgprs: 0
; TotalNumVgprs: 15
; ScratchSize: 0
; MemoryBound: 0
; FloatMode: 240
; IeeeMode: 1
; LDSByteSize: 0 bytes/workgroup (compile time only)
; SGPRBlocks: 3
; VGPRBlocks: 1
; NumSGPRsForWavesPerEU: 27
; NumVGPRsForWavesPerEU: 15
; AccumOffset: 16
; Occupancy: 8
; WaveLimiterHint : 0
; COMPUTE_PGM_RSRC2:SCRATCH_EN: 0
; COMPUTE_PGM_RSRC2:USER_SGPR: 2
; COMPUTE_PGM_RSRC2:TRAP_HANDLER: 0
; COMPUTE_PGM_RSRC2:TGID_X_EN: 1
; COMPUTE_PGM_RSRC2:TGID_Y_EN: 1
; COMPUTE_PGM_RSRC2:TGID_Z_EN: 1
; COMPUTE_PGM_RSRC2:TIDIG_COMP_CNT: 2
; COMPUTE_PGM_RSRC3_GFX90A:ACCUM_OFFSET: 3
; COMPUTE_PGM_RSRC3_GFX90A:TG_SPLIT: 0
	.section	.text._ZL39kernel_cg_grid_group_type_via_base_typePiS_S_S_,"axG",@progbits,_ZL39kernel_cg_grid_group_type_via_base_typePiS_S_S_,comdat
	.globl	_ZL39kernel_cg_grid_group_type_via_base_typePiS_S_S_ ; -- Begin function _ZL39kernel_cg_grid_group_type_via_base_typePiS_S_S_
	.p2align	8
	.type	_ZL39kernel_cg_grid_group_type_via_base_typePiS_S_S_,@function
_ZL39kernel_cg_grid_group_type_via_base_typePiS_S_S_: ; @_ZL39kernel_cg_grid_group_type_via_base_typePiS_S_S_
; %bb.0:
	s_load_dword s5, s[0:1], 0x30
	s_load_dwordx4 s[16:19], s[0:1], 0x20
	s_add_u32 s6, s0, 32
	s_addc_u32 s7, s1, 0
	v_mov_b32_e32 v1, 0
	s_waitcnt lgkmcnt(0)
	s_and_b32 s5, s5, 0xffff
	s_lshr_b32 s20, s19, 16
	s_cmp_lt_u32 s2, s16
	s_cselect_b32 s8, 12, 18
	s_add_u32 s6, s6, s8
	s_addc_u32 s7, s7, 0
	global_load_ushort v5, v1, s[6:7]
	s_mul_i32 s4, s17, s4
	s_load_dwordx8 s[8:15], s[0:1], 0x0
	s_and_b32 s7, s19, 0xffff
	s_add_i32 s3, s4, s3
	v_and_b32_e32 v2, 0x3ff, v0
	s_mul_i32 s6, s18, s5
	s_mul_i32 s4, s2, s7
	;; [unrolled: 1-line block ×3, first 2 shown]
	v_bfe_u32 v3, v0, 20, 10
	v_bfe_u32 v4, v0, 10, 10
	s_mul_i32 s6, s6, s17
	v_add_u32_e32 v0, s4, v2
	s_add_i32 s3, s3, s2
	s_mul_i32 s6, s6, s20
	v_ashrrev_i32_e32 v1, 31, v0
	s_mul_i32 s3, s3, s5
	s_mul_i32 s6, s6, s16
	v_lshlrev_b64 v[6:7], 2, v[0:1]
	v_add_u32_e32 v10, s3, v3
	s_waitcnt lgkmcnt(0)
	v_lshl_add_u64 v[8:9], s[8:9], 0, v[6:7]
	v_lshl_add_u64 v[12:13], s[10:11], 0, v[6:7]
	v_lshl_add_u64 v[6:7], s[12:13], 0, v[6:7]
	s_waitcnt vmcnt(0)
	v_mad_u64_u32 v[10:11], s[4:5], v10, s20, v[4:5]
	v_mul_lo_u32 v14, s6, v5
	v_mad_u64_u32 v[10:11], s[4:5], v10, v5, v[2:3]
	global_store_dword v[8:9], v14, off
	global_store_dword v[12:13], v10, off
	s_load_dwordx2 s[0:1], s[0:1], 0x78
	v_or_b32_e32 v5, s2, v2
	v_cmp_eq_u32_e64 s[4:5], 0, v5
	v_cmp_ne_u32_e32 vcc, 0, v5
	s_waitcnt lgkmcnt(0)
	s_cmp_lg_u64 s[0:1], 0
	s_cselect_b64 s[6:7], -1, 0
	v_cndmask_b32_e64 v5, 0, 1, s[6:7]
	s_getpc_b64 s[6:7]
	s_add_u32 s6, s6, _ZL2gm.0@rel32@lo+4
	s_addc_u32 s7, s7, _ZL2gm.0@rel32@hi+12
	global_store_dword v[6:7], v5, off
	v_mov_b64_e32 v[6:7], s[6:7]
	s_and_saveexec_b64 s[6:7], vcc
	s_cbranch_execz .LBB1_2
; %bb.1:
	s_cmp_eq_u32 s2, 1
	s_cselect_b64 s[2:3], -1, 0
	v_cmp_eq_u32_e32 vcc, 0, v2
	s_and_b64 s[2:3], s[2:3], vcc
	s_getpc_b64 s[8:9]
	s_add_u32 s8, s8, _ZL2gm.1@rel32@lo+4
	s_addc_u32 s9, s9, _ZL2gm.1@rel32@hi+12
	s_andn2_b64 s[4:5], s[4:5], exec
	s_and_b64 s[2:3], s[2:3], exec
	v_mov_b64_e32 v[6:7], s[8:9]
	s_or_b64 s[4:5], s[4:5], s[2:3]
.LBB1_2:
	s_or_b64 exec, exec, s[6:7]
	s_and_saveexec_b64 s[2:3], s[4:5]
	s_cbranch_execz .LBB1_4
; %bb.3:
	v_mov_b32_e32 v5, 1
	global_store_byte v[6:7], v5, off
.LBB1_4:
	s_or_b64 exec, exec, s[2:3]
	v_or3_b32 v2, v4, v3, v2
	v_cmp_eq_u32_e32 vcc, 0, v2
	s_barrier
	s_and_saveexec_b64 s[2:3], vcc
	s_cbranch_execz .LBB1_14
; %bb.5:
	v_mov_b32_e32 v4, 0
	buffer_wbl2 sc1
	s_waitcnt vmcnt(0)
	global_load_dword v2, v4, s[0:1] offset:40
	s_mov_b64 s[4:5], exec
	v_mbcnt_lo_u32_b32 v3, s4, 0
	v_mbcnt_hi_u32_b32 v3, s5, v3
	v_cmp_eq_u32_e32 vcc, 0, v3
                                        ; implicit-def: $vgpr5
	s_and_saveexec_b64 s[6:7], vcc
	s_cbranch_execz .LBB1_7
; %bb.6:
	s_bcnt1_i32_b64 s4, s[4:5]
	v_mov_b32_e32 v5, s4
	global_atomic_add v5, v4, v5, s[0:1] offset:32 sc0
.LBB1_7:
	s_or_b64 exec, exec, s[6:7]
	s_waitcnt vmcnt(0)
	v_readfirstlane_b32 s4, v5
	v_add_u32_e32 v4, -1, v2
	s_nop 0
	v_add_u32_e32 v3, s4, v3
	v_cmp_eq_u32_sdwa s[6:7], v3, v4 src0_sel:WORD_0 src1_sel:DWORD
	s_and_saveexec_b64 s[4:5], s[6:7]
	s_cbranch_execz .LBB1_10
; %bb.8:
	s_mov_b64 s[6:7], exec
	v_mbcnt_lo_u32_b32 v4, s6, 0
	v_mbcnt_hi_u32_b32 v4, s7, v4
	v_cmp_eq_u32_e32 vcc, 0, v4
	s_and_b64 s[8:9], exec, vcc
	s_mov_b64 exec, s[8:9]
	s_cbranch_execz .LBB1_10
; %bb.9:
	v_sub_u32_e32 v2, 0x10000, v2
	s_bcnt1_i32_b64 s6, s[6:7]
	v_mul_lo_u32 v2, v2, s6
	v_mov_b32_e32 v4, 0
	global_atomic_add v4, v2, s[0:1] offset:32
.LBB1_10:
	s_or_b64 exec, exec, s[4:5]
	v_mov_b32_e32 v2, 0
	global_load_dword v4, v2, s[0:1] offset:32 sc1
	v_and_b32_e32 v3, 0xffff0000, v3
	s_waitcnt vmcnt(0)
	v_and_b32_e32 v4, 0xffff0000, v4
	v_cmp_eq_u32_e32 vcc, v4, v3
	s_and_b64 exec, exec, vcc
	s_cbranch_execz .LBB1_13
; %bb.11:
	s_mov_b64 s[4:5], 0
.LBB1_12:                               ; =>This Inner Loop Header: Depth=1
	s_sleep 1
	global_load_dword v4, v2, s[0:1] offset:32 sc1
	s_waitcnt vmcnt(0)
	v_and_b32_e32 v4, 0xffff0000, v4
	v_cmp_ne_u32_e32 vcc, v4, v3
	s_or_b64 s[4:5], vcc, s[4:5]
	s_andn2_b64 exec, exec, s[4:5]
	s_cbranch_execnz .LBB1_12
.LBB1_13:
	buffer_inv sc1
.LBB1_14:
	s_or_b64 exec, exec, s[2:3]
	s_getpc_b64 s[0:1]
	s_add_u32 s0, s0, _ZL2gm.1@rel32@lo+4
	s_addc_u32 s1, s1, _ZL2gm.1@rel32@hi+12
	v_mov_b32_e32 v2, 0
	s_getpc_b64 s[2:3]
	s_add_u32 s2, s2, _ZL2gm.0@rel32@lo+4
	s_addc_u32 s3, s3, _ZL2gm.0@rel32@hi+12
	s_barrier
	global_load_ubyte v4, v2, s[0:1]
	global_load_ubyte v5, v2, s[2:3]
	v_mov_b32_e32 v2, s14
	v_mov_b32_e32 v3, s15
	v_lshl_add_u64 v[0:1], v[0:1], 2, v[2:3]
	s_waitcnt vmcnt(1)
	v_and_b32_e32 v4, 1, v4
	s_waitcnt vmcnt(0)
	v_and_b32_e32 v5, 1, v5
	v_cmp_eq_u32_e32 vcc, 1, v4
	s_nop 1
	v_cndmask_b32_e64 v4, 0, 20, vcc
	v_cmp_eq_u32_e32 vcc, 1, v5
	s_nop 1
	v_cndmask_b32_e64 v5, 0, 10, vcc
	v_mul_lo_u32 v4, v5, v4
	global_store_dword v[0:1], v4, off
	s_endpgm
	.section	.rodata,"a",@progbits
	.p2align	6, 0x0
	.amdhsa_kernel _ZL39kernel_cg_grid_group_type_via_base_typePiS_S_S_
		.amdhsa_group_segment_fixed_size 0
		.amdhsa_private_segment_fixed_size 0
		.amdhsa_kernarg_size 288
		.amdhsa_user_sgpr_count 2
		.amdhsa_user_sgpr_dispatch_ptr 0
		.amdhsa_user_sgpr_queue_ptr 0
		.amdhsa_user_sgpr_kernarg_segment_ptr 1
		.amdhsa_user_sgpr_dispatch_id 0
		.amdhsa_user_sgpr_kernarg_preload_length 0
		.amdhsa_user_sgpr_kernarg_preload_offset 0
		.amdhsa_user_sgpr_private_segment_size 0
		.amdhsa_uses_dynamic_stack 0
		.amdhsa_enable_private_segment 0
		.amdhsa_system_sgpr_workgroup_id_x 1
		.amdhsa_system_sgpr_workgroup_id_y 1
		.amdhsa_system_sgpr_workgroup_id_z 1
		.amdhsa_system_sgpr_workgroup_info 0
		.amdhsa_system_vgpr_workitem_id 2
		.amdhsa_next_free_vgpr 15
		.amdhsa_next_free_sgpr 21
		.amdhsa_accum_offset 16
		.amdhsa_reserve_vcc 1
		.amdhsa_float_round_mode_32 0
		.amdhsa_float_round_mode_16_64 0
		.amdhsa_float_denorm_mode_32 3
		.amdhsa_float_denorm_mode_16_64 3
		.amdhsa_dx10_clamp 1
		.amdhsa_ieee_mode 1
		.amdhsa_fp16_overflow 0
		.amdhsa_tg_split 0
		.amdhsa_exception_fp_ieee_invalid_op 0
		.amdhsa_exception_fp_denorm_src 0
		.amdhsa_exception_fp_ieee_div_zero 0
		.amdhsa_exception_fp_ieee_overflow 0
		.amdhsa_exception_fp_ieee_underflow 0
		.amdhsa_exception_fp_ieee_inexact 0
		.amdhsa_exception_int_div_zero 0
	.end_amdhsa_kernel
	.section	.text._ZL39kernel_cg_grid_group_type_via_base_typePiS_S_S_,"axG",@progbits,_ZL39kernel_cg_grid_group_type_via_base_typePiS_S_S_,comdat
.Lfunc_end1:
	.size	_ZL39kernel_cg_grid_group_type_via_base_typePiS_S_S_, .Lfunc_end1-_ZL39kernel_cg_grid_group_type_via_base_typePiS_S_S_
                                        ; -- End function
	.set _ZL39kernel_cg_grid_group_type_via_base_typePiS_S_S_.num_vgpr, 15
	.set _ZL39kernel_cg_grid_group_type_via_base_typePiS_S_S_.num_agpr, 0
	.set _ZL39kernel_cg_grid_group_type_via_base_typePiS_S_S_.numbered_sgpr, 21
	.set _ZL39kernel_cg_grid_group_type_via_base_typePiS_S_S_.num_named_barrier, 0
	.set _ZL39kernel_cg_grid_group_type_via_base_typePiS_S_S_.private_seg_size, 0
	.set _ZL39kernel_cg_grid_group_type_via_base_typePiS_S_S_.uses_vcc, 1
	.set _ZL39kernel_cg_grid_group_type_via_base_typePiS_S_S_.uses_flat_scratch, 0
	.set _ZL39kernel_cg_grid_group_type_via_base_typePiS_S_S_.has_dyn_sized_stack, 0
	.set _ZL39kernel_cg_grid_group_type_via_base_typePiS_S_S_.has_recursion, 0
	.set _ZL39kernel_cg_grid_group_type_via_base_typePiS_S_S_.has_indirect_call, 0
	.section	.AMDGPU.csdata,"",@progbits
; Kernel info:
; codeLenInByte = 860
; TotalNumSgprs: 27
; NumVgprs: 15
; NumAgprs: 0
; TotalNumVgprs: 15
; ScratchSize: 0
; MemoryBound: 0
; FloatMode: 240
; IeeeMode: 1
; LDSByteSize: 0 bytes/workgroup (compile time only)
; SGPRBlocks: 3
; VGPRBlocks: 1
; NumSGPRsForWavesPerEU: 27
; NumVGPRsForWavesPerEU: 15
; AccumOffset: 16
; Occupancy: 8
; WaveLimiterHint : 0
; COMPUTE_PGM_RSRC2:SCRATCH_EN: 0
; COMPUTE_PGM_RSRC2:USER_SGPR: 2
; COMPUTE_PGM_RSRC2:TRAP_HANDLER: 0
; COMPUTE_PGM_RSRC2:TGID_X_EN: 1
; COMPUTE_PGM_RSRC2:TGID_Y_EN: 1
; COMPUTE_PGM_RSRC2:TGID_Z_EN: 1
; COMPUTE_PGM_RSRC2:TIDIG_COMP_CNT: 2
; COMPUTE_PGM_RSRC3_GFX90A:ACCUM_OFFSET: 3
; COMPUTE_PGM_RSRC3_GFX90A:TG_SPLIT: 0
	.section	.text._ZL40kernel_cg_grid_group_type_via_public_apiPiS_S_S_P4dim3,"axG",@progbits,_ZL40kernel_cg_grid_group_type_via_public_apiPiS_S_S_P4dim3,comdat
	.globl	_ZL40kernel_cg_grid_group_type_via_public_apiPiS_S_S_P4dim3 ; -- Begin function _ZL40kernel_cg_grid_group_type_via_public_apiPiS_S_S_P4dim3
	.p2align	8
	.type	_ZL40kernel_cg_grid_group_type_via_public_apiPiS_S_S_P4dim3,@function
_ZL40kernel_cg_grid_group_type_via_public_apiPiS_S_S_P4dim3: ; @_ZL40kernel_cg_grid_group_type_via_public_apiPiS_S_S_P4dim3
; %bb.0:
	s_load_dword s5, s[0:1], 0x38
	s_load_dwordx4 s[16:19], s[0:1], 0x28
	s_add_u32 s6, s0, 40
	s_addc_u32 s7, s1, 0
	v_mov_b32_e32 v1, 0
	s_waitcnt lgkmcnt(0)
	s_and_b32 s5, s5, 0xffff
	s_lshr_b32 s20, s19, 16
	s_cmp_lt_u32 s2, s16
	s_cselect_b32 s8, 12, 18
	s_add_u32 s6, s6, s8
	s_addc_u32 s7, s7, 0
	global_load_ushort v5, v1, s[6:7]
	s_mul_i32 s4, s17, s4
	s_load_dwordx8 s[8:15], s[0:1], 0x0
	s_and_b32 s7, s19, 0xffff
	s_add_i32 s3, s4, s3
	v_and_b32_e32 v2, 0x3ff, v0
	s_mul_i32 s6, s18, s5
	s_mul_i32 s4, s2, s7
	;; [unrolled: 1-line block ×3, first 2 shown]
	v_bfe_u32 v3, v0, 20, 10
	v_bfe_u32 v4, v0, 10, 10
	s_mul_i32 s6, s6, s17
	v_add_u32_e32 v0, s4, v2
	s_add_i32 s3, s3, s2
	s_mul_i32 s6, s6, s20
	v_ashrrev_i32_e32 v1, 31, v0
	s_mul_i32 s3, s3, s5
	s_mul_i32 s6, s6, s16
	v_lshlrev_b64 v[6:7], 2, v[0:1]
	v_add_u32_e32 v10, s3, v3
	s_waitcnt lgkmcnt(0)
	v_lshl_add_u64 v[8:9], s[8:9], 0, v[6:7]
	v_lshl_add_u64 v[12:13], s[10:11], 0, v[6:7]
	v_lshl_add_u64 v[6:7], s[12:13], 0, v[6:7]
	s_waitcnt vmcnt(0)
	v_mad_u64_u32 v[10:11], s[4:5], v10, s20, v[4:5]
	v_mul_lo_u32 v14, s6, v5
	v_mad_u64_u32 v[10:11], s[4:5], v10, v5, v[2:3]
	global_store_dword v[8:9], v14, off
	global_store_dword v[12:13], v10, off
	s_load_dwordx2 s[4:5], s[0:1], 0x80
	v_or_b32_e32 v5, s2, v2
	v_cmp_eq_u32_e64 s[6:7], 0, v5
	v_cmp_ne_u32_e32 vcc, 0, v5
	s_waitcnt lgkmcnt(0)
	s_cmp_lg_u64 s[4:5], 0
	s_cselect_b64 s[8:9], -1, 0
	v_cndmask_b32_e64 v5, 0, 1, s[8:9]
	s_getpc_b64 s[8:9]
	s_add_u32 s8, s8, _ZL2gm.0@rel32@lo+4
	s_addc_u32 s9, s9, _ZL2gm.0@rel32@hi+12
	global_store_dword v[6:7], v5, off
	v_mov_b64_e32 v[6:7], s[8:9]
	s_and_saveexec_b64 s[8:9], vcc
	s_cbranch_execz .LBB2_2
; %bb.1:
	s_cmp_eq_u32 s2, 1
	s_cselect_b64 s[2:3], -1, 0
	v_cmp_eq_u32_e32 vcc, 0, v2
	s_and_b64 s[2:3], s[2:3], vcc
	s_getpc_b64 s[10:11]
	s_add_u32 s10, s10, _ZL2gm.1@rel32@lo+4
	s_addc_u32 s11, s11, _ZL2gm.1@rel32@hi+12
	s_andn2_b64 s[6:7], s[6:7], exec
	s_and_b64 s[2:3], s[2:3], exec
	v_mov_b64_e32 v[6:7], s[10:11]
	s_or_b64 s[6:7], s[6:7], s[2:3]
.LBB2_2:
	s_or_b64 exec, exec, s[8:9]
	s_load_dwordx2 s[0:1], s[0:1], 0x20
	s_and_saveexec_b64 s[2:3], s[6:7]
	s_cbranch_execz .LBB2_4
; %bb.3:
	v_mov_b32_e32 v5, 1
	global_store_byte v[6:7], v5, off
.LBB2_4:
	s_or_b64 exec, exec, s[2:3]
	v_or3_b32 v2, v2, v4, v3
	v_cmp_eq_u32_e32 vcc, 0, v2
	s_waitcnt lgkmcnt(0)
	s_barrier
	s_and_saveexec_b64 s[2:3], vcc
	s_cbranch_execz .LBB2_14
; %bb.5:
	v_mov_b32_e32 v4, 0
	buffer_wbl2 sc1
	s_waitcnt vmcnt(0)
	global_load_dword v2, v4, s[4:5] offset:40
	s_mov_b64 s[6:7], exec
	v_mbcnt_lo_u32_b32 v3, s6, 0
	v_mbcnt_hi_u32_b32 v3, s7, v3
	v_cmp_eq_u32_e32 vcc, 0, v3
                                        ; implicit-def: $vgpr5
	s_and_saveexec_b64 s[8:9], vcc
	s_cbranch_execz .LBB2_7
; %bb.6:
	s_bcnt1_i32_b64 s6, s[6:7]
	v_mov_b32_e32 v5, s6
	global_atomic_add v5, v4, v5, s[4:5] offset:32 sc0
.LBB2_7:
	s_or_b64 exec, exec, s[8:9]
	s_waitcnt vmcnt(0)
	v_readfirstlane_b32 s6, v5
	v_add_u32_e32 v4, -1, v2
	s_nop 0
	v_add_u32_e32 v3, s6, v3
	v_cmp_eq_u32_sdwa s[8:9], v3, v4 src0_sel:WORD_0 src1_sel:DWORD
	s_and_saveexec_b64 s[6:7], s[8:9]
	s_cbranch_execz .LBB2_10
; %bb.8:
	s_mov_b64 s[8:9], exec
	v_mbcnt_lo_u32_b32 v4, s8, 0
	v_mbcnt_hi_u32_b32 v4, s9, v4
	v_cmp_eq_u32_e32 vcc, 0, v4
	s_and_b64 s[10:11], exec, vcc
	s_mov_b64 exec, s[10:11]
	s_cbranch_execz .LBB2_10
; %bb.9:
	v_sub_u32_e32 v2, 0x10000, v2
	s_bcnt1_i32_b64 s8, s[8:9]
	v_mul_lo_u32 v2, v2, s8
	v_mov_b32_e32 v4, 0
	global_atomic_add v4, v2, s[4:5] offset:32
.LBB2_10:
	s_or_b64 exec, exec, s[6:7]
	v_mov_b32_e32 v2, 0
	global_load_dword v4, v2, s[4:5] offset:32 sc1
	v_and_b32_e32 v3, 0xffff0000, v3
	s_waitcnt vmcnt(0)
	v_and_b32_e32 v4, 0xffff0000, v4
	v_cmp_eq_u32_e32 vcc, v4, v3
	s_and_b64 exec, exec, vcc
	s_cbranch_execz .LBB2_13
; %bb.11:
	s_mov_b64 s[6:7], 0
.LBB2_12:                               ; =>This Inner Loop Header: Depth=1
	s_sleep 1
	global_load_dword v4, v2, s[4:5] offset:32 sc1
	s_waitcnt vmcnt(0)
	v_and_b32_e32 v4, 0xffff0000, v4
	v_cmp_ne_u32_e32 vcc, v4, v3
	s_or_b64 s[6:7], vcc, s[6:7]
	s_andn2_b64 exec, exec, s[6:7]
	s_cbranch_execnz .LBB2_12
.LBB2_13:
	buffer_inv sc1
.LBB2_14:
	s_or_b64 exec, exec, s[2:3]
	s_getpc_b64 s[2:3]
	s_add_u32 s2, s2, _ZL2gm.1@rel32@lo+4
	s_addc_u32 s3, s3, _ZL2gm.1@rel32@hi+12
	v_mov_b32_e32 v2, 0
	s_getpc_b64 s[4:5]
	s_add_u32 s4, s4, _ZL2gm.0@rel32@lo+4
	s_addc_u32 s5, s5, _ZL2gm.0@rel32@hi+12
	s_barrier
	global_load_ubyte v5, v2, s[2:3]
	global_load_ubyte v10, v2, s[4:5]
	v_mov_b32_e32 v6, s14
	v_mov_b32_e32 v7, s15
	;; [unrolled: 1-line block ×4, first 2 shown]
	v_lshl_add_u64 v[6:7], v[0:1], 2, v[6:7]
	v_mad_i64_i32 v[0:1], s[0:1], v0, 12, v[8:9]
	v_mov_b32_e32 v2, s16
	v_mov_b32_e32 v3, s17
	;; [unrolled: 1-line block ×3, first 2 shown]
	s_waitcnt vmcnt(1)
	v_and_b32_e32 v5, 1, v5
	s_waitcnt vmcnt(0)
	v_and_b32_e32 v8, 1, v10
	v_cmp_eq_u32_e32 vcc, 1, v5
	s_nop 1
	v_cndmask_b32_e64 v5, 0, 20, vcc
	v_cmp_eq_u32_e32 vcc, 1, v8
	s_nop 1
	v_cndmask_b32_e64 v8, 0, 10, vcc
	v_mul_lo_u32 v5, v8, v5
	global_store_dword v[6:7], v5, off
	global_store_dwordx3 v[0:1], v[2:4], off
	s_endpgm
	.section	.rodata,"a",@progbits
	.p2align	6, 0x0
	.amdhsa_kernel _ZL40kernel_cg_grid_group_type_via_public_apiPiS_S_S_P4dim3
		.amdhsa_group_segment_fixed_size 0
		.amdhsa_private_segment_fixed_size 0
		.amdhsa_kernarg_size 296
		.amdhsa_user_sgpr_count 2
		.amdhsa_user_sgpr_dispatch_ptr 0
		.amdhsa_user_sgpr_queue_ptr 0
		.amdhsa_user_sgpr_kernarg_segment_ptr 1
		.amdhsa_user_sgpr_dispatch_id 0
		.amdhsa_user_sgpr_kernarg_preload_length 0
		.amdhsa_user_sgpr_kernarg_preload_offset 0
		.amdhsa_user_sgpr_private_segment_size 0
		.amdhsa_uses_dynamic_stack 0
		.amdhsa_enable_private_segment 0
		.amdhsa_system_sgpr_workgroup_id_x 1
		.amdhsa_system_sgpr_workgroup_id_y 1
		.amdhsa_system_sgpr_workgroup_id_z 1
		.amdhsa_system_sgpr_workgroup_info 0
		.amdhsa_system_vgpr_workitem_id 2
		.amdhsa_next_free_vgpr 15
		.amdhsa_next_free_sgpr 21
		.amdhsa_accum_offset 16
		.amdhsa_reserve_vcc 1
		.amdhsa_float_round_mode_32 0
		.amdhsa_float_round_mode_16_64 0
		.amdhsa_float_denorm_mode_32 3
		.amdhsa_float_denorm_mode_16_64 3
		.amdhsa_dx10_clamp 1
		.amdhsa_ieee_mode 1
		.amdhsa_fp16_overflow 0
		.amdhsa_tg_split 0
		.amdhsa_exception_fp_ieee_invalid_op 0
		.amdhsa_exception_fp_denorm_src 0
		.amdhsa_exception_fp_ieee_div_zero 0
		.amdhsa_exception_fp_ieee_overflow 0
		.amdhsa_exception_fp_ieee_underflow 0
		.amdhsa_exception_fp_ieee_inexact 0
		.amdhsa_exception_int_div_zero 0
	.end_amdhsa_kernel
	.section	.text._ZL40kernel_cg_grid_group_type_via_public_apiPiS_S_S_P4dim3,"axG",@progbits,_ZL40kernel_cg_grid_group_type_via_public_apiPiS_S_S_P4dim3,comdat
.Lfunc_end2:
	.size	_ZL40kernel_cg_grid_group_type_via_public_apiPiS_S_S_P4dim3, .Lfunc_end2-_ZL40kernel_cg_grid_group_type_via_public_apiPiS_S_S_P4dim3
                                        ; -- End function
	.set _ZL40kernel_cg_grid_group_type_via_public_apiPiS_S_S_P4dim3.num_vgpr, 15
	.set _ZL40kernel_cg_grid_group_type_via_public_apiPiS_S_S_P4dim3.num_agpr, 0
	.set _ZL40kernel_cg_grid_group_type_via_public_apiPiS_S_S_P4dim3.numbered_sgpr, 21
	.set _ZL40kernel_cg_grid_group_type_via_public_apiPiS_S_S_P4dim3.num_named_barrier, 0
	.set _ZL40kernel_cg_grid_group_type_via_public_apiPiS_S_S_P4dim3.private_seg_size, 0
	.set _ZL40kernel_cg_grid_group_type_via_public_apiPiS_S_S_P4dim3.uses_vcc, 1
	.set _ZL40kernel_cg_grid_group_type_via_public_apiPiS_S_S_P4dim3.uses_flat_scratch, 0
	.set _ZL40kernel_cg_grid_group_type_via_public_apiPiS_S_S_P4dim3.has_dyn_sized_stack, 0
	.set _ZL40kernel_cg_grid_group_type_via_public_apiPiS_S_S_P4dim3.has_recursion, 0
	.set _ZL40kernel_cg_grid_group_type_via_public_apiPiS_S_S_P4dim3.has_indirect_call, 0
	.section	.AMDGPU.csdata,"",@progbits
; Kernel info:
; codeLenInByte = 908
; TotalNumSgprs: 27
; NumVgprs: 15
; NumAgprs: 0
; TotalNumVgprs: 15
; ScratchSize: 0
; MemoryBound: 0
; FloatMode: 240
; IeeeMode: 1
; LDSByteSize: 0 bytes/workgroup (compile time only)
; SGPRBlocks: 3
; VGPRBlocks: 1
; NumSGPRsForWavesPerEU: 27
; NumVGPRsForWavesPerEU: 15
; AccumOffset: 16
; Occupancy: 8
; WaveLimiterHint : 0
; COMPUTE_PGM_RSRC2:SCRATCH_EN: 0
; COMPUTE_PGM_RSRC2:USER_SGPR: 2
; COMPUTE_PGM_RSRC2:TRAP_HANDLER: 0
; COMPUTE_PGM_RSRC2:TGID_X_EN: 1
; COMPUTE_PGM_RSRC2:TGID_Y_EN: 1
; COMPUTE_PGM_RSRC2:TGID_Z_EN: 1
; COMPUTE_PGM_RSRC2:TIDIG_COMP_CNT: 2
; COMPUTE_PGM_RSRC3_GFX90A:ACCUM_OFFSET: 3
; COMPUTE_PGM_RSRC3_GFX90A:TG_SPLIT: 0
	.section	.text._ZL11coop_kernelPjS_jj,"axG",@progbits,_ZL11coop_kernelPjS_jj,comdat
	.globl	_ZL11coop_kernelPjS_jj          ; -- Begin function _ZL11coop_kernelPjS_jj
	.p2align	8
	.type	_ZL11coop_kernelPjS_jj,@function
_ZL11coop_kernelPjS_jj:                 ; @_ZL11coop_kernelPjS_jj
; %bb.0:
	s_load_dwordx2 s[6:7], s[0:1], 0x10
	s_mov_b32 s20, 0
	s_waitcnt lgkmcnt(0)
	s_cmp_eq_u32 s6, 0
	s_cbranch_scc1 .LBB3_29
; %bb.1:
	v_mov_b32_e32 v1, 0
	global_load_dword v3, v1, s[0:1] offset:38
	s_load_dwordx2 s[14:15], s[0:1], 0x18
	s_add_u32 s12, s0, 24
	s_addc_u32 s13, s1, 0
	v_bfe_u32 v5, v0, 20, 10
	v_bfe_u32 v2, v0, 10, 10
	v_and_b32_e32 v0, 0x3ff, v0
	v_or3_b32 v6, v0, v2, v5
	v_cmp_eq_u32_e32 vcc, 0, v6
	s_waitcnt vmcnt(0)
	v_readfirstlane_b32 s5, v3
	s_lshr_b32 s5, s5, 16
	s_waitcnt lgkmcnt(0)
	s_cmp_lt_u32 s2, s14
	s_cselect_b32 s8, 12, 18
	s_add_u32 s8, s12, s8
	s_addc_u32 s9, s13, 0
	global_load_ushort v4, v1, s[8:9]
	s_load_dword s16, s[0:1], 0x20
	s_load_dwordx4 s[8:11], s[0:1], 0x0
	s_mul_i32 s0, s15, s4
	s_add_i32 s0, s0, s3
	s_mul_i32 s0, s0, s14
	s_add_i32 s0, s0, s2
	s_waitcnt lgkmcnt(0)
	s_mul_i32 s1, s16, s5
	s_mul_i32 s0, s0, s5
	v_and_b32_e32 v3, 0xffff, v3
	s_mul_i32 s1, s1, s15
	v_add_u32_e32 v5, s0, v5
	v_mul_lo_u32 v6, s1, v3
	v_mad_u64_u32 v[2:3], s[0:1], v5, v3, v[2:3]
	v_mul_lo_u32 v6, v6, s14
	s_waitcnt vmcnt(0)
	v_mad_u64_u32 v[2:3], s[0:1], v2, v4, v[0:1]
	v_mul_lo_u32 v6, v6, v4
	v_cmp_gt_u32_e64 s[0:1], s7, v2
	v_xad_u32 v3, v2, -1, s7
	s_branch .LBB3_4
.LBB3_2:                                ;   in Loop: Header=BB3_4 Depth=1
	buffer_inv sc1
.LBB3_3:                                ;   in Loop: Header=BB3_4 Depth=1
	s_or_b64 exec, exec, s[4:5]
	s_add_i32 s20, s20, 1
	s_cmp_eq_u32 s20, s6
	s_barrier
	s_cbranch_scc1 .LBB3_29
.LBB3_4:                                ; =>This Loop Header: Depth=1
                                        ;     Child Loop BB3_6 Depth 2
                                        ;     Child Loop BB3_15 Depth 2
	;; [unrolled: 1-line block ×4, first 2 shown]
	s_and_saveexec_b64 s[4:5], s[0:1]
	s_cbranch_execz .LBB3_7
; %bb.5:                                ;   in Loop: Header=BB3_4 Depth=1
	s_mov_b64 s[14:15], 0
	v_mov_b32_e32 v4, v2
.LBB3_6:                                ;   Parent Loop BB3_4 Depth=1
                                        ; =>  This Inner Loop Header: Depth=2
	v_ashrrev_i32_e32 v5, 31, v4
	v_lshlrev_b64 v[8:9], 2, v[4:5]
	v_lshl_add_u64 v[10:11], s[8:9], 0, v[8:9]
	v_lshl_add_u64 v[8:9], s[10:11], 0, v[8:9]
	global_load_dword v0, v[10:11], off
	global_load_dword v5, v[8:9], off
	v_add_u32_e32 v4, v4, v6
	v_cmp_le_u32_e64 s[2:3], s7, v4
	s_or_b64 s[14:15], s[2:3], s[14:15]
	s_waitcnt vmcnt(0)
	v_add_u32_e32 v0, v5, v0
	global_store_dword v[8:9], v0, off
	s_andn2_b64 exec, exec, s[14:15]
	s_cbranch_execnz .LBB3_6
.LBB3_7:                                ;   in Loop: Header=BB3_4 Depth=1
	s_or_b64 exec, exec, s[4:5]
	s_barrier
	s_and_saveexec_b64 s[4:5], vcc
	s_cbranch_execz .LBB3_17
; %bb.8:                                ;   in Loop: Header=BB3_4 Depth=1
	buffer_wbl2 sc1
	s_waitcnt vmcnt(0)
	s_load_dwordx2 s[14:15], s[12:13], 0x58
	s_mov_b64 s[16:17], exec
	v_mbcnt_lo_u32_b32 v4, s16, 0
	v_mbcnt_hi_u32_b32 v4, s17, v4
	v_cmp_eq_u32_e64 s[2:3], 0, v4
	s_waitcnt lgkmcnt(0)
	global_load_dword v0, v1, s[14:15] offset:40
                                        ; implicit-def: $vgpr5
	s_and_saveexec_b64 s[18:19], s[2:3]
	s_cbranch_execz .LBB3_10
; %bb.9:                                ;   in Loop: Header=BB3_4 Depth=1
	s_bcnt1_i32_b64 s2, s[16:17]
	v_mov_b32_e32 v5, s2
	global_atomic_add v5, v1, v5, s[14:15] offset:32 sc0
.LBB3_10:                               ;   in Loop: Header=BB3_4 Depth=1
	s_or_b64 exec, exec, s[18:19]
	s_waitcnt vmcnt(0)
	v_readfirstlane_b32 s2, v5
	v_add_u32_e32 v5, -1, v0
	s_nop 0
	v_add_u32_e32 v4, s2, v4
	v_cmp_eq_u32_sdwa s[2:3], v4, v5 src0_sel:WORD_0 src1_sel:DWORD
	s_and_saveexec_b64 s[16:17], s[2:3]
	s_cbranch_execz .LBB3_13
; %bb.11:                               ;   in Loop: Header=BB3_4 Depth=1
	s_mov_b64 s[18:19], exec
	v_mbcnt_lo_u32_b32 v5, s18, 0
	v_mbcnt_hi_u32_b32 v5, s19, v5
	v_cmp_eq_u32_e64 s[2:3], 0, v5
	s_and_b64 s[2:3], exec, s[2:3]
	s_mov_b64 exec, s[2:3]
	s_cbranch_execz .LBB3_13
; %bb.12:                               ;   in Loop: Header=BB3_4 Depth=1
	v_sub_u32_e32 v0, 0x10000, v0
	s_bcnt1_i32_b64 s2, s[18:19]
	v_mul_lo_u32 v0, v0, s2
	global_atomic_add v1, v0, s[14:15] offset:32
.LBB3_13:                               ;   in Loop: Header=BB3_4 Depth=1
	s_or_b64 exec, exec, s[16:17]
	global_load_dword v5, v1, s[14:15] offset:32 sc1
	v_and_b32_e32 v0, 0xffff0000, v4
	s_waitcnt vmcnt(0)
	v_and_b32_e32 v4, 0xffff0000, v5
	v_cmp_eq_u32_e64 s[2:3], v4, v0
	s_and_b64 exec, exec, s[2:3]
	s_cbranch_execz .LBB3_16
; %bb.14:                               ;   in Loop: Header=BB3_4 Depth=1
	s_mov_b64 s[16:17], 0
.LBB3_15:                               ;   Parent Loop BB3_4 Depth=1
                                        ; =>  This Inner Loop Header: Depth=2
	s_sleep 1
	global_load_dword v4, v1, s[14:15] offset:32 sc1
	s_waitcnt vmcnt(0)
	v_and_b32_e32 v4, 0xffff0000, v4
	v_cmp_ne_u32_e64 s[2:3], v4, v0
	s_or_b64 s[16:17], s[2:3], s[16:17]
	s_andn2_b64 exec, exec, s[16:17]
	s_cbranch_execnz .LBB3_15
.LBB3_16:                               ;   in Loop: Header=BB3_4 Depth=1
	buffer_inv sc1
.LBB3_17:                               ;   in Loop: Header=BB3_4 Depth=1
	s_or_b64 exec, exec, s[4:5]
	s_barrier
	s_and_saveexec_b64 s[4:5], s[0:1]
	s_cbranch_execz .LBB3_20
; %bb.18:                               ;   in Loop: Header=BB3_4 Depth=1
	s_mov_b64 s[14:15], 0
	v_mov_b32_e32 v0, v3
	v_mov_b32_e32 v4, v2
.LBB3_19:                               ;   Parent Loop BB3_4 Depth=1
                                        ; =>  This Inner Loop Header: Depth=2
	v_lshl_add_u64 v[8:9], v[0:1], 2, s[10:11]
	v_ashrrev_i32_e32 v5, 31, v4
	global_load_dword v7, v[8:9], off
	v_lshl_add_u64 v[8:9], v[4:5], 2, s[8:9]
	global_load_dword v5, v[8:9], off
	v_add_u32_e32 v4, v4, v6
	v_cmp_le_u32_e64 s[2:3], s7, v4
	v_sub_u32_e32 v0, v0, v6
	s_or_b64 s[14:15], s[2:3], s[14:15]
	s_waitcnt vmcnt(0)
	v_add_u32_e32 v5, v5, v7
	global_store_dword v[8:9], v5, off
	s_andn2_b64 exec, exec, s[14:15]
	s_cbranch_execnz .LBB3_19
.LBB3_20:                               ;   in Loop: Header=BB3_4 Depth=1
	s_or_b64 exec, exec, s[4:5]
	s_barrier
	s_and_saveexec_b64 s[4:5], vcc
	s_cbranch_execz .LBB3_3
; %bb.21:                               ;   in Loop: Header=BB3_4 Depth=1
	buffer_wbl2 sc1
	s_waitcnt vmcnt(0)
	s_load_dwordx2 s[14:15], s[12:13], 0x58
	s_mov_b64 s[16:17], exec
	v_mbcnt_lo_u32_b32 v4, s16, 0
	v_mbcnt_hi_u32_b32 v4, s17, v4
	v_cmp_eq_u32_e64 s[2:3], 0, v4
	s_waitcnt lgkmcnt(0)
	global_load_dword v0, v1, s[14:15] offset:40
                                        ; implicit-def: $vgpr5
	s_and_saveexec_b64 s[18:19], s[2:3]
	s_cbranch_execz .LBB3_23
; %bb.22:                               ;   in Loop: Header=BB3_4 Depth=1
	s_bcnt1_i32_b64 s2, s[16:17]
	v_mov_b32_e32 v5, s2
	global_atomic_add v5, v1, v5, s[14:15] offset:32 sc0
.LBB3_23:                               ;   in Loop: Header=BB3_4 Depth=1
	s_or_b64 exec, exec, s[18:19]
	s_waitcnt vmcnt(0)
	v_readfirstlane_b32 s2, v5
	v_add_u32_e32 v5, -1, v0
	s_nop 0
	v_add_u32_e32 v4, s2, v4
	v_cmp_eq_u32_sdwa s[2:3], v4, v5 src0_sel:WORD_0 src1_sel:DWORD
	s_and_saveexec_b64 s[16:17], s[2:3]
	s_cbranch_execz .LBB3_26
; %bb.24:                               ;   in Loop: Header=BB3_4 Depth=1
	s_mov_b64 s[18:19], exec
	v_mbcnt_lo_u32_b32 v5, s18, 0
	v_mbcnt_hi_u32_b32 v5, s19, v5
	v_cmp_eq_u32_e64 s[2:3], 0, v5
	s_and_b64 s[2:3], exec, s[2:3]
	s_mov_b64 exec, s[2:3]
	s_cbranch_execz .LBB3_26
; %bb.25:                               ;   in Loop: Header=BB3_4 Depth=1
	v_sub_u32_e32 v0, 0x10000, v0
	s_bcnt1_i32_b64 s2, s[18:19]
	v_mul_lo_u32 v0, v0, s2
	global_atomic_add v1, v0, s[14:15] offset:32
.LBB3_26:                               ;   in Loop: Header=BB3_4 Depth=1
	s_or_b64 exec, exec, s[16:17]
	global_load_dword v5, v1, s[14:15] offset:32 sc1
	v_and_b32_e32 v0, 0xffff0000, v4
	s_waitcnt vmcnt(0)
	v_and_b32_e32 v4, 0xffff0000, v5
	v_cmp_eq_u32_e64 s[2:3], v4, v0
	s_and_b64 exec, exec, s[2:3]
	s_cbranch_execz .LBB3_2
; %bb.27:                               ;   in Loop: Header=BB3_4 Depth=1
	s_mov_b64 s[16:17], 0
.LBB3_28:                               ;   Parent Loop BB3_4 Depth=1
                                        ; =>  This Inner Loop Header: Depth=2
	s_sleep 1
	global_load_dword v4, v1, s[14:15] offset:32 sc1
	s_waitcnt vmcnt(0)
	v_and_b32_e32 v4, 0xffff0000, v4
	v_cmp_ne_u32_e64 s[2:3], v4, v0
	s_or_b64 s[16:17], s[2:3], s[16:17]
	s_andn2_b64 exec, exec, s[16:17]
	s_cbranch_execnz .LBB3_28
	s_branch .LBB3_2
.LBB3_29:
	s_endpgm
	.section	.rodata,"a",@progbits
	.p2align	6, 0x0
	.amdhsa_kernel _ZL11coop_kernelPjS_jj
		.amdhsa_group_segment_fixed_size 0
		.amdhsa_private_segment_fixed_size 0
		.amdhsa_kernarg_size 280
		.amdhsa_user_sgpr_count 2
		.amdhsa_user_sgpr_dispatch_ptr 0
		.amdhsa_user_sgpr_queue_ptr 0
		.amdhsa_user_sgpr_kernarg_segment_ptr 1
		.amdhsa_user_sgpr_dispatch_id 0
		.amdhsa_user_sgpr_kernarg_preload_length 0
		.amdhsa_user_sgpr_kernarg_preload_offset 0
		.amdhsa_user_sgpr_private_segment_size 0
		.amdhsa_uses_dynamic_stack 0
		.amdhsa_enable_private_segment 0
		.amdhsa_system_sgpr_workgroup_id_x 1
		.amdhsa_system_sgpr_workgroup_id_y 1
		.amdhsa_system_sgpr_workgroup_id_z 1
		.amdhsa_system_sgpr_workgroup_info 0
		.amdhsa_system_vgpr_workitem_id 2
		.amdhsa_next_free_vgpr 12
		.amdhsa_next_free_sgpr 21
		.amdhsa_accum_offset 12
		.amdhsa_reserve_vcc 1
		.amdhsa_float_round_mode_32 0
		.amdhsa_float_round_mode_16_64 0
		.amdhsa_float_denorm_mode_32 3
		.amdhsa_float_denorm_mode_16_64 3
		.amdhsa_dx10_clamp 1
		.amdhsa_ieee_mode 1
		.amdhsa_fp16_overflow 0
		.amdhsa_tg_split 0
		.amdhsa_exception_fp_ieee_invalid_op 0
		.amdhsa_exception_fp_denorm_src 0
		.amdhsa_exception_fp_ieee_div_zero 0
		.amdhsa_exception_fp_ieee_overflow 0
		.amdhsa_exception_fp_ieee_underflow 0
		.amdhsa_exception_fp_ieee_inexact 0
		.amdhsa_exception_int_div_zero 0
	.end_amdhsa_kernel
	.section	.text._ZL11coop_kernelPjS_jj,"axG",@progbits,_ZL11coop_kernelPjS_jj,comdat
.Lfunc_end3:
	.size	_ZL11coop_kernelPjS_jj, .Lfunc_end3-_ZL11coop_kernelPjS_jj
                                        ; -- End function
	.set _ZL11coop_kernelPjS_jj.num_vgpr, 12
	.set _ZL11coop_kernelPjS_jj.num_agpr, 0
	.set _ZL11coop_kernelPjS_jj.numbered_sgpr, 21
	.set _ZL11coop_kernelPjS_jj.num_named_barrier, 0
	.set _ZL11coop_kernelPjS_jj.private_seg_size, 0
	.set _ZL11coop_kernelPjS_jj.uses_vcc, 1
	.set _ZL11coop_kernelPjS_jj.uses_flat_scratch, 0
	.set _ZL11coop_kernelPjS_jj.has_dyn_sized_stack, 0
	.set _ZL11coop_kernelPjS_jj.has_recursion, 0
	.set _ZL11coop_kernelPjS_jj.has_indirect_call, 0
	.section	.AMDGPU.csdata,"",@progbits
; Kernel info:
; codeLenInByte = 1112
; TotalNumSgprs: 27
; NumVgprs: 12
; NumAgprs: 0
; TotalNumVgprs: 12
; ScratchSize: 0
; MemoryBound: 0
; FloatMode: 240
; IeeeMode: 1
; LDSByteSize: 0 bytes/workgroup (compile time only)
; SGPRBlocks: 3
; VGPRBlocks: 1
; NumSGPRsForWavesPerEU: 27
; NumVGPRsForWavesPerEU: 12
; AccumOffset: 12
; Occupancy: 8
; WaveLimiterHint : 0
; COMPUTE_PGM_RSRC2:SCRATCH_EN: 0
; COMPUTE_PGM_RSRC2:USER_SGPR: 2
; COMPUTE_PGM_RSRC2:TRAP_HANDLER: 0
; COMPUTE_PGM_RSRC2:TGID_X_EN: 1
; COMPUTE_PGM_RSRC2:TGID_Y_EN: 1
; COMPUTE_PGM_RSRC2:TGID_Z_EN: 1
; COMPUTE_PGM_RSRC2:TIDIG_COMP_CNT: 2
; COMPUTE_PGM_RSRC3_GFX90A:ACCUM_OFFSET: 2
; COMPUTE_PGM_RSRC3_GFX90A:TG_SPLIT: 0
	.section	.text._ZL11test_kernelPjS_j,"axG",@progbits,_ZL11test_kernelPjS_j,comdat
	.globl	_ZL11test_kernelPjS_j           ; -- Begin function _ZL11test_kernelPjS_j
	.p2align	8
	.type	_ZL11test_kernelPjS_j,@function
_ZL11test_kernelPjS_j:                  ; @_ZL11test_kernelPjS_j
; %bb.0:
	s_load_dword s22, s[0:1], 0x10
	s_mov_b32 s23, 0
	s_waitcnt lgkmcnt(0)
	s_cmp_eq_u32 s22, 0
	s_cbranch_scc1 .LBB4_18
; %bb.1:
	v_mov_b32_e32 v2, 0
	global_load_dword v1, v2, s[0:1] offset:38
	s_load_dwordx2 s[6:7], s[0:1], 0x1c
	s_load_dword s24, s[0:1], 0x18
	s_add_u32 s12, s0, 24
	s_addc_u32 s13, s1, 0
	v_bfe_u32 v5, v0, 20, 10
	s_waitcnt lgkmcnt(0)
	s_mul_i32 s4, s6, s4
	s_add_i32 s3, s4, s3
	s_mul_i32 s3, s3, s24
	s_add_i32 s3, s3, s2
	v_bfe_u32 v4, v0, 10, 10
	v_and_b32_e32 v0, 0x3ff, v0
	v_or3_b32 v7, v0, v4, v5
	s_load_dwordx4 s[8:11], s[0:1], 0x0
	v_cmp_eq_u32_e64 s[0:1], 0, v0
	v_mov_b32_e32 v3, -1
	s_waitcnt vmcnt(0)
	v_readfirstlane_b32 s4, v1
	s_lshr_b32 s14, s4, 16
	s_cmp_lt_u32 s2, s24
	s_cselect_b32 s4, 12, 18
	s_add_u32 s4, s12, s4
	s_addc_u32 s5, s13, 0
	global_load_ushort v6, v2, s[4:5]
	s_mul_i32 s3, s3, s14
	s_mul_i32 s7, s7, s14
	v_and_b32_e32 v1, 0xffff, v1
	v_add_u32_e32 v5, s3, v5
	s_mul_i32 s3, s7, s6
	v_mad_u64_u32 v[4:5], s[6:7], v5, v1, v[4:5]
	v_mul_lo_u32 v1, s3, v1
	v_mul_lo_u32 v5, v1, s24
	v_cmp_eq_u32_e64 s[4:5], 0, v7
	s_waitcnt vmcnt(0)
	v_mad_u64_u32 v[0:1], s[6:7], v4, v6, v[0:1]
	v_mul_lo_u32 v1, v5, v6
	v_add_u32_e32 v1, -1, v1
	v_cmp_eq_u32_e64 s[6:7], v0, v1
	v_mov_b64_e32 v[0:1], 0xf4240
	s_branch .LBB4_4
.LBB4_2:                                ;   in Loop: Header=BB4_4 Depth=1
	buffer_inv sc1
.LBB4_3:                                ;   in Loop: Header=BB4_4 Depth=1
	s_or_b64 exec, exec, s[14:15]
	s_add_i32 s2, s2, s24
	s_add_i32 s23, s23, 1
	s_cmp_eq_u32 s23, s22
	s_barrier
	s_cbranch_scc1 .LBB4_18
.LBB4_4:                                ; =>This Loop Header: Depth=1
                                        ;     Child Loop BB4_6 Depth 2
                                        ;     Child Loop BB4_17 Depth 2
	s_and_saveexec_b64 s[14:15], s[6:7]
	s_cbranch_execz .LBB4_7
; %bb.5:                                ;   in Loop: Header=BB4_4 Depth=1
	s_memtime s[18:19]
	s_mov_b64 s[16:17], 0
.LBB4_6:                                ;   Parent Loop BB4_4 Depth=1
                                        ; =>  This Inner Loop Header: Depth=2
	s_memtime s[20:21]
	s_waitcnt lgkmcnt(0)
	v_mov_b64_e32 v[4:5], s[18:19]
	s_sub_u32 s3, s20, s18
	v_cmp_gt_i64_e32 vcc, s[20:21], v[4:5]
	s_subb_u32 s25, s21, s19
	s_mov_b64 s[18:19], s[20:21]
	s_and_b64 s[20:21], vcc, exec
	s_cselect_b32 s3, s3, 0
	s_cselect_b32 s20, s25, 0
	s_add_u32 s16, s3, s16
	s_addc_u32 s17, s20, s17
	v_cmp_lt_i64_e32 vcc, s[16:17], v[0:1]
	s_cbranch_vccnz .LBB4_6
.LBB4_7:                                ;   in Loop: Header=BB4_4 Depth=1
	s_or_b64 exec, exec, s[14:15]
	s_and_saveexec_b64 s[14:15], s[0:1]
	s_cbranch_execz .LBB4_9
; %bb.8:                                ;   in Loop: Header=BB4_4 Depth=1
	s_waitcnt lgkmcnt(0)
	global_atomic_inc v4, v2, v3, s[8:9] sc0
	s_ashr_i32 s3, s2, 31
	s_lshl_b64 s[16:17], s[2:3], 2
	s_add_u32 s16, s10, s16
	s_addc_u32 s17, s11, s17
	s_waitcnt vmcnt(0)
	global_store_dword v2, v4, s[16:17]
.LBB4_9:                                ;   in Loop: Header=BB4_4 Depth=1
	s_or_b64 exec, exec, s[14:15]
	s_waitcnt lgkmcnt(0)
	s_barrier
	s_and_saveexec_b64 s[14:15], s[4:5]
	s_cbranch_execz .LBB4_3
; %bb.10:                               ;   in Loop: Header=BB4_4 Depth=1
	buffer_wbl2 sc1
	s_waitcnt vmcnt(0)
	s_load_dwordx2 s[16:17], s[12:13], 0x58
	s_mov_b64 s[18:19], exec
	v_mbcnt_lo_u32_b32 v5, s18, 0
	v_mbcnt_hi_u32_b32 v5, s19, v5
	v_cmp_eq_u32_e32 vcc, 0, v5
	s_waitcnt lgkmcnt(0)
	global_load_dword v4, v2, s[16:17] offset:40
                                        ; implicit-def: $vgpr6
	s_and_saveexec_b64 s[20:21], vcc
	s_cbranch_execz .LBB4_12
; %bb.11:                               ;   in Loop: Header=BB4_4 Depth=1
	s_bcnt1_i32_b64 s3, s[18:19]
	v_mov_b32_e32 v6, s3
	global_atomic_add v6, v2, v6, s[16:17] offset:32 sc0
.LBB4_12:                               ;   in Loop: Header=BB4_4 Depth=1
	s_or_b64 exec, exec, s[20:21]
	s_waitcnt vmcnt(0)
	v_readfirstlane_b32 s3, v6
	v_add_u32_e32 v6, -1, v4
	s_nop 0
	v_add_u32_e32 v5, s3, v5
	v_cmp_eq_u32_sdwa s[20:21], v5, v6 src0_sel:WORD_0 src1_sel:DWORD
	s_and_saveexec_b64 s[18:19], s[20:21]
	s_cbranch_execz .LBB4_15
; %bb.13:                               ;   in Loop: Header=BB4_4 Depth=1
	s_mov_b64 s[20:21], exec
	v_mbcnt_lo_u32_b32 v6, s20, 0
	v_mbcnt_hi_u32_b32 v6, s21, v6
	v_cmp_eq_u32_e32 vcc, 0, v6
	s_and_b64 s[26:27], exec, vcc
	s_mov_b64 exec, s[26:27]
	s_cbranch_execz .LBB4_15
; %bb.14:                               ;   in Loop: Header=BB4_4 Depth=1
	v_sub_u32_e32 v4, 0x10000, v4
	s_bcnt1_i32_b64 s3, s[20:21]
	v_mul_lo_u32 v4, v4, s3
	global_atomic_add v2, v4, s[16:17] offset:32
.LBB4_15:                               ;   in Loop: Header=BB4_4 Depth=1
	s_or_b64 exec, exec, s[18:19]
	global_load_dword v6, v2, s[16:17] offset:32 sc1
	v_and_b32_e32 v4, 0xffff0000, v5
	s_waitcnt vmcnt(0)
	v_and_b32_e32 v5, 0xffff0000, v6
	v_cmp_eq_u32_e32 vcc, v5, v4
	s_and_b64 exec, exec, vcc
	s_cbranch_execz .LBB4_2
; %bb.16:                               ;   in Loop: Header=BB4_4 Depth=1
	s_mov_b64 s[18:19], 0
.LBB4_17:                               ;   Parent Loop BB4_4 Depth=1
                                        ; =>  This Inner Loop Header: Depth=2
	s_sleep 1
	global_load_dword v5, v2, s[16:17] offset:32 sc1
	s_waitcnt vmcnt(0)
	v_and_b32_e32 v5, 0xffff0000, v5
	v_cmp_ne_u32_e32 vcc, v5, v4
	s_or_b64 s[18:19], vcc, s[18:19]
	s_andn2_b64 exec, exec, s[18:19]
	s_cbranch_execnz .LBB4_17
	s_branch .LBB4_2
.LBB4_18:
	s_endpgm
	.section	.rodata,"a",@progbits
	.p2align	6, 0x0
	.amdhsa_kernel _ZL11test_kernelPjS_j
		.amdhsa_group_segment_fixed_size 0
		.amdhsa_private_segment_fixed_size 0
		.amdhsa_kernarg_size 280
		.amdhsa_user_sgpr_count 2
		.amdhsa_user_sgpr_dispatch_ptr 0
		.amdhsa_user_sgpr_queue_ptr 0
		.amdhsa_user_sgpr_kernarg_segment_ptr 1
		.amdhsa_user_sgpr_dispatch_id 0
		.amdhsa_user_sgpr_kernarg_preload_length 0
		.amdhsa_user_sgpr_kernarg_preload_offset 0
		.amdhsa_user_sgpr_private_segment_size 0
		.amdhsa_uses_dynamic_stack 0
		.amdhsa_enable_private_segment 0
		.amdhsa_system_sgpr_workgroup_id_x 1
		.amdhsa_system_sgpr_workgroup_id_y 1
		.amdhsa_system_sgpr_workgroup_id_z 1
		.amdhsa_system_sgpr_workgroup_info 0
		.amdhsa_system_vgpr_workitem_id 2
		.amdhsa_next_free_vgpr 8
		.amdhsa_next_free_sgpr 28
		.amdhsa_accum_offset 8
		.amdhsa_reserve_vcc 1
		.amdhsa_float_round_mode_32 0
		.amdhsa_float_round_mode_16_64 0
		.amdhsa_float_denorm_mode_32 3
		.amdhsa_float_denorm_mode_16_64 3
		.amdhsa_dx10_clamp 1
		.amdhsa_ieee_mode 1
		.amdhsa_fp16_overflow 0
		.amdhsa_tg_split 0
		.amdhsa_exception_fp_ieee_invalid_op 0
		.amdhsa_exception_fp_denorm_src 0
		.amdhsa_exception_fp_ieee_div_zero 0
		.amdhsa_exception_fp_ieee_overflow 0
		.amdhsa_exception_fp_ieee_underflow 0
		.amdhsa_exception_fp_ieee_inexact 0
		.amdhsa_exception_int_div_zero 0
	.end_amdhsa_kernel
	.section	.text._ZL11test_kernelPjS_j,"axG",@progbits,_ZL11test_kernelPjS_j,comdat
.Lfunc_end4:
	.size	_ZL11test_kernelPjS_j, .Lfunc_end4-_ZL11test_kernelPjS_j
                                        ; -- End function
	.set _ZL11test_kernelPjS_j.num_vgpr, 8
	.set _ZL11test_kernelPjS_j.num_agpr, 0
	.set _ZL11test_kernelPjS_j.numbered_sgpr, 28
	.set _ZL11test_kernelPjS_j.num_named_barrier, 0
	.set _ZL11test_kernelPjS_j.private_seg_size, 0
	.set _ZL11test_kernelPjS_j.uses_vcc, 1
	.set _ZL11test_kernelPjS_j.uses_flat_scratch, 0
	.set _ZL11test_kernelPjS_j.has_dyn_sized_stack, 0
	.set _ZL11test_kernelPjS_j.has_recursion, 0
	.set _ZL11test_kernelPjS_j.has_indirect_call, 0
	.section	.AMDGPU.csdata,"",@progbits
; Kernel info:
; codeLenInByte = 732
; TotalNumSgprs: 34
; NumVgprs: 8
; NumAgprs: 0
; TotalNumVgprs: 8
; ScratchSize: 0
; MemoryBound: 0
; FloatMode: 240
; IeeeMode: 1
; LDSByteSize: 0 bytes/workgroup (compile time only)
; SGPRBlocks: 4
; VGPRBlocks: 0
; NumSGPRsForWavesPerEU: 34
; NumVGPRsForWavesPerEU: 8
; AccumOffset: 8
; Occupancy: 8
; WaveLimiterHint : 0
; COMPUTE_PGM_RSRC2:SCRATCH_EN: 0
; COMPUTE_PGM_RSRC2:USER_SGPR: 2
; COMPUTE_PGM_RSRC2:TRAP_HANDLER: 0
; COMPUTE_PGM_RSRC2:TGID_X_EN: 1
; COMPUTE_PGM_RSRC2:TGID_Y_EN: 1
; COMPUTE_PGM_RSRC2:TGID_Z_EN: 1
; COMPUTE_PGM_RSRC2:TIDIG_COMP_CNT: 2
; COMPUTE_PGM_RSRC3_GFX90A:ACCUM_OFFSET: 1
; COMPUTE_PGM_RSRC3_GFX90A:TG_SPLIT: 0
	.text
	.protected	_Z17test_kernel_gfx11PjS_j ; -- Begin function _Z17test_kernel_gfx11PjS_j
	.globl	_Z17test_kernel_gfx11PjS_j
	.p2align	8
	.type	_Z17test_kernel_gfx11PjS_j,@function
_Z17test_kernel_gfx11PjS_j:             ; @_Z17test_kernel_gfx11PjS_j
; %bb.0:
	s_load_dword s22, s[0:1], 0x10
	s_mov_b32 s23, 0
	s_waitcnt lgkmcnt(0)
	s_cmp_eq_u32 s22, 0
	s_cbranch_scc1 .LBB5_18
; %bb.1:
	v_mov_b32_e32 v2, 0
	global_load_dword v1, v2, s[0:1] offset:38
	s_load_dwordx2 s[6:7], s[0:1], 0x1c
	s_load_dword s24, s[0:1], 0x18
	s_add_u32 s12, s0, 24
	s_addc_u32 s13, s1, 0
	v_bfe_u32 v5, v0, 20, 10
	s_waitcnt lgkmcnt(0)
	s_mul_i32 s4, s6, s4
	s_add_i32 s3, s4, s3
	s_mul_i32 s3, s3, s24
	s_add_i32 s3, s3, s2
	v_bfe_u32 v4, v0, 10, 10
	v_and_b32_e32 v0, 0x3ff, v0
	v_or3_b32 v7, v0, v4, v5
	s_load_dwordx4 s[8:11], s[0:1], 0x0
	v_cmp_eq_u32_e64 s[0:1], 0, v0
	v_mov_b32_e32 v3, -1
	s_waitcnt vmcnt(0)
	v_readfirstlane_b32 s4, v1
	s_lshr_b32 s14, s4, 16
	s_cmp_lt_u32 s2, s24
	s_cselect_b32 s4, 12, 18
	s_add_u32 s4, s12, s4
	s_addc_u32 s5, s13, 0
	global_load_ushort v6, v2, s[4:5]
	s_mul_i32 s3, s3, s14
	s_mul_i32 s7, s7, s14
	v_and_b32_e32 v1, 0xffff, v1
	v_add_u32_e32 v5, s3, v5
	s_mul_i32 s3, s7, s6
	v_mad_u64_u32 v[4:5], s[6:7], v5, v1, v[4:5]
	v_mul_lo_u32 v1, s3, v1
	v_mul_lo_u32 v5, v1, s24
	v_cmp_eq_u32_e64 s[4:5], 0, v7
	s_waitcnt vmcnt(0)
	v_mad_u64_u32 v[0:1], s[6:7], v4, v6, v[0:1]
	v_mul_lo_u32 v1, v5, v6
	v_add_u32_e32 v1, -1, v1
	v_cmp_eq_u32_e64 s[6:7], v0, v1
	v_mov_b64_e32 v[0:1], 0xf4240
	s_branch .LBB5_4
.LBB5_2:                                ;   in Loop: Header=BB5_4 Depth=1
	buffer_inv sc1
.LBB5_3:                                ;   in Loop: Header=BB5_4 Depth=1
	s_or_b64 exec, exec, s[14:15]
	s_add_i32 s2, s2, s24
	s_add_i32 s23, s23, 1
	s_cmp_eq_u32 s23, s22
	s_barrier
	s_cbranch_scc1 .LBB5_18
.LBB5_4:                                ; =>This Loop Header: Depth=1
                                        ;     Child Loop BB5_6 Depth 2
                                        ;     Child Loop BB5_17 Depth 2
	s_and_saveexec_b64 s[14:15], s[6:7]
	s_cbranch_execz .LBB5_7
; %bb.5:                                ;   in Loop: Header=BB5_4 Depth=1
	s_memrealtime s[18:19]
	s_mov_b64 s[16:17], 0
.LBB5_6:                                ;   Parent Loop BB5_4 Depth=1
                                        ; =>  This Inner Loop Header: Depth=2
	s_memrealtime s[20:21]
	s_waitcnt lgkmcnt(0)
	v_mov_b64_e32 v[4:5], s[18:19]
	s_sub_u32 s3, s20, s18
	v_cmp_gt_i64_e32 vcc, s[20:21], v[4:5]
	s_subb_u32 s25, s21, s19
	s_mov_b64 s[18:19], s[20:21]
	s_and_b64 s[20:21], vcc, exec
	s_cselect_b32 s3, s3, 0
	s_cselect_b32 s20, s25, 0
	s_add_u32 s16, s3, s16
	s_addc_u32 s17, s20, s17
	v_cmp_lt_i64_e32 vcc, s[16:17], v[0:1]
	s_cbranch_vccnz .LBB5_6
.LBB5_7:                                ;   in Loop: Header=BB5_4 Depth=1
	s_or_b64 exec, exec, s[14:15]
	s_and_saveexec_b64 s[14:15], s[0:1]
	s_cbranch_execz .LBB5_9
; %bb.8:                                ;   in Loop: Header=BB5_4 Depth=1
	s_waitcnt lgkmcnt(0)
	global_atomic_inc v4, v2, v3, s[8:9] sc0
	s_ashr_i32 s3, s2, 31
	s_lshl_b64 s[16:17], s[2:3], 2
	s_add_u32 s16, s10, s16
	s_addc_u32 s17, s11, s17
	s_waitcnt vmcnt(0)
	global_store_dword v2, v4, s[16:17]
.LBB5_9:                                ;   in Loop: Header=BB5_4 Depth=1
	s_or_b64 exec, exec, s[14:15]
	s_waitcnt lgkmcnt(0)
	s_barrier
	s_and_saveexec_b64 s[14:15], s[4:5]
	s_cbranch_execz .LBB5_3
; %bb.10:                               ;   in Loop: Header=BB5_4 Depth=1
	buffer_wbl2 sc1
	s_waitcnt vmcnt(0)
	s_load_dwordx2 s[16:17], s[12:13], 0x58
	s_mov_b64 s[18:19], exec
	v_mbcnt_lo_u32_b32 v5, s18, 0
	v_mbcnt_hi_u32_b32 v5, s19, v5
	v_cmp_eq_u32_e32 vcc, 0, v5
	s_waitcnt lgkmcnt(0)
	global_load_dword v4, v2, s[16:17] offset:40
                                        ; implicit-def: $vgpr6
	s_and_saveexec_b64 s[20:21], vcc
	s_cbranch_execz .LBB5_12
; %bb.11:                               ;   in Loop: Header=BB5_4 Depth=1
	s_bcnt1_i32_b64 s3, s[18:19]
	v_mov_b32_e32 v6, s3
	global_atomic_add v6, v2, v6, s[16:17] offset:32 sc0
.LBB5_12:                               ;   in Loop: Header=BB5_4 Depth=1
	s_or_b64 exec, exec, s[20:21]
	s_waitcnt vmcnt(0)
	v_readfirstlane_b32 s3, v6
	v_add_u32_e32 v6, -1, v4
	s_nop 0
	v_add_u32_e32 v5, s3, v5
	v_cmp_eq_u32_sdwa s[20:21], v5, v6 src0_sel:WORD_0 src1_sel:DWORD
	s_and_saveexec_b64 s[18:19], s[20:21]
	s_cbranch_execz .LBB5_15
; %bb.13:                               ;   in Loop: Header=BB5_4 Depth=1
	s_mov_b64 s[20:21], exec
	v_mbcnt_lo_u32_b32 v6, s20, 0
	v_mbcnt_hi_u32_b32 v6, s21, v6
	v_cmp_eq_u32_e32 vcc, 0, v6
	s_and_b64 s[26:27], exec, vcc
	s_mov_b64 exec, s[26:27]
	s_cbranch_execz .LBB5_15
; %bb.14:                               ;   in Loop: Header=BB5_4 Depth=1
	v_sub_u32_e32 v4, 0x10000, v4
	s_bcnt1_i32_b64 s3, s[20:21]
	v_mul_lo_u32 v4, v4, s3
	global_atomic_add v2, v4, s[16:17] offset:32
.LBB5_15:                               ;   in Loop: Header=BB5_4 Depth=1
	s_or_b64 exec, exec, s[18:19]
	global_load_dword v6, v2, s[16:17] offset:32 sc1
	v_and_b32_e32 v4, 0xffff0000, v5
	s_waitcnt vmcnt(0)
	v_and_b32_e32 v5, 0xffff0000, v6
	v_cmp_eq_u32_e32 vcc, v5, v4
	s_and_b64 exec, exec, vcc
	s_cbranch_execz .LBB5_2
; %bb.16:                               ;   in Loop: Header=BB5_4 Depth=1
	s_mov_b64 s[18:19], 0
.LBB5_17:                               ;   Parent Loop BB5_4 Depth=1
                                        ; =>  This Inner Loop Header: Depth=2
	s_sleep 1
	global_load_dword v5, v2, s[16:17] offset:32 sc1
	s_waitcnt vmcnt(0)
	v_and_b32_e32 v5, 0xffff0000, v5
	v_cmp_ne_u32_e32 vcc, v5, v4
	s_or_b64 s[18:19], vcc, s[18:19]
	s_andn2_b64 exec, exec, s[18:19]
	s_cbranch_execnz .LBB5_17
	s_branch .LBB5_2
.LBB5_18:
	s_endpgm
	.section	.rodata,"a",@progbits
	.p2align	6, 0x0
	.amdhsa_kernel _Z17test_kernel_gfx11PjS_j
		.amdhsa_group_segment_fixed_size 0
		.amdhsa_private_segment_fixed_size 0
		.amdhsa_kernarg_size 280
		.amdhsa_user_sgpr_count 2
		.amdhsa_user_sgpr_dispatch_ptr 0
		.amdhsa_user_sgpr_queue_ptr 0
		.amdhsa_user_sgpr_kernarg_segment_ptr 1
		.amdhsa_user_sgpr_dispatch_id 0
		.amdhsa_user_sgpr_kernarg_preload_length 0
		.amdhsa_user_sgpr_kernarg_preload_offset 0
		.amdhsa_user_sgpr_private_segment_size 0
		.amdhsa_uses_dynamic_stack 0
		.amdhsa_enable_private_segment 0
		.amdhsa_system_sgpr_workgroup_id_x 1
		.amdhsa_system_sgpr_workgroup_id_y 1
		.amdhsa_system_sgpr_workgroup_id_z 1
		.amdhsa_system_sgpr_workgroup_info 0
		.amdhsa_system_vgpr_workitem_id 2
		.amdhsa_next_free_vgpr 8
		.amdhsa_next_free_sgpr 28
		.amdhsa_accum_offset 8
		.amdhsa_reserve_vcc 1
		.amdhsa_float_round_mode_32 0
		.amdhsa_float_round_mode_16_64 0
		.amdhsa_float_denorm_mode_32 3
		.amdhsa_float_denorm_mode_16_64 3
		.amdhsa_dx10_clamp 1
		.amdhsa_ieee_mode 1
		.amdhsa_fp16_overflow 0
		.amdhsa_tg_split 0
		.amdhsa_exception_fp_ieee_invalid_op 0
		.amdhsa_exception_fp_denorm_src 0
		.amdhsa_exception_fp_ieee_div_zero 0
		.amdhsa_exception_fp_ieee_overflow 0
		.amdhsa_exception_fp_ieee_underflow 0
		.amdhsa_exception_fp_ieee_inexact 0
		.amdhsa_exception_int_div_zero 0
	.end_amdhsa_kernel
	.text
.Lfunc_end5:
	.size	_Z17test_kernel_gfx11PjS_j, .Lfunc_end5-_Z17test_kernel_gfx11PjS_j
                                        ; -- End function
	.set _Z17test_kernel_gfx11PjS_j.num_vgpr, 8
	.set _Z17test_kernel_gfx11PjS_j.num_agpr, 0
	.set _Z17test_kernel_gfx11PjS_j.numbered_sgpr, 28
	.set _Z17test_kernel_gfx11PjS_j.num_named_barrier, 0
	.set _Z17test_kernel_gfx11PjS_j.private_seg_size, 0
	.set _Z17test_kernel_gfx11PjS_j.uses_vcc, 1
	.set _Z17test_kernel_gfx11PjS_j.uses_flat_scratch, 0
	.set _Z17test_kernel_gfx11PjS_j.has_dyn_sized_stack, 0
	.set _Z17test_kernel_gfx11PjS_j.has_recursion, 0
	.set _Z17test_kernel_gfx11PjS_j.has_indirect_call, 0
	.section	.AMDGPU.csdata,"",@progbits
; Kernel info:
; codeLenInByte = 732
; TotalNumSgprs: 34
; NumVgprs: 8
; NumAgprs: 0
; TotalNumVgprs: 8
; ScratchSize: 0
; MemoryBound: 0
; FloatMode: 240
; IeeeMode: 1
; LDSByteSize: 0 bytes/workgroup (compile time only)
; SGPRBlocks: 4
; VGPRBlocks: 0
; NumSGPRsForWavesPerEU: 34
; NumVGPRsForWavesPerEU: 8
; AccumOffset: 8
; Occupancy: 8
; WaveLimiterHint : 0
; COMPUTE_PGM_RSRC2:SCRATCH_EN: 0
; COMPUTE_PGM_RSRC2:USER_SGPR: 2
; COMPUTE_PGM_RSRC2:TRAP_HANDLER: 0
; COMPUTE_PGM_RSRC2:TGID_X_EN: 1
; COMPUTE_PGM_RSRC2:TGID_Y_EN: 1
; COMPUTE_PGM_RSRC2:TGID_Z_EN: 1
; COMPUTE_PGM_RSRC2:TIDIG_COMP_CNT: 2
; COMPUTE_PGM_RSRC3_GFX90A:ACCUM_OFFSET: 1
; COMPUTE_PGM_RSRC3_GFX90A:TG_SPLIT: 0
	.text
	.p2alignl 6, 3212836864
	.fill 256, 4, 3212836864
	.section	.AMDGPU.gpr_maximums,"",@progbits
	.set amdgpu.max_num_vgpr, 0
	.set amdgpu.max_num_agpr, 0
	.set amdgpu.max_num_sgpr, 0
	.text
	.type	_ZL2gm.0,@object                ; @_ZL2gm.0
	.local	_ZL2gm.0
	.comm	_ZL2gm.0,1,2
	.type	_ZL2gm.1,@object                ; @_ZL2gm.1
	.local	_ZL2gm.1
	.comm	_ZL2gm.1,1,2
	.type	__hip_cuid_bed2c3819c457487,@object ; @__hip_cuid_bed2c3819c457487
	.section	.bss,"aw",@nobits
	.globl	__hip_cuid_bed2c3819c457487
__hip_cuid_bed2c3819c457487:
	.byte	0                               ; 0x0
	.size	__hip_cuid_bed2c3819c457487, 1

	.ident	"AMD clang version 22.0.0git (https://github.com/RadeonOpenCompute/llvm-project roc-7.2.4 26084 f58b06dce1f9c15707c5f808fd002e18c2accf7e)"
	.section	".note.GNU-stack","",@progbits
	.addrsig
	.addrsig_sym __hip_cuid_bed2c3819c457487
	.amdgpu_metadata
---
amdhsa.kernels:
  - .agpr_count:     0
    .args:
      - .address_space:  global
        .offset:         0
        .size:           8
        .value_kind:     global_buffer
      - .address_space:  global
        .offset:         8
        .size:           8
        .value_kind:     global_buffer
      - .address_space:  global
        .offset:         16
        .size:           8
        .value_kind:     global_buffer
      - .address_space:  global
        .offset:         24
        .size:           8
        .value_kind:     global_buffer
      - .address_space:  global
        .offset:         32
        .size:           8
        .value_kind:     global_buffer
      - .offset:         40
        .size:           4
        .value_kind:     hidden_block_count_x
      - .offset:         44
        .size:           4
        .value_kind:     hidden_block_count_y
      - .offset:         48
        .size:           4
        .value_kind:     hidden_block_count_z
      - .offset:         52
        .size:           2
        .value_kind:     hidden_group_size_x
      - .offset:         54
        .size:           2
        .value_kind:     hidden_group_size_y
      - .offset:         56
        .size:           2
        .value_kind:     hidden_group_size_z
      - .offset:         58
        .size:           2
        .value_kind:     hidden_remainder_x
      - .offset:         60
        .size:           2
        .value_kind:     hidden_remainder_y
      - .offset:         62
        .size:           2
        .value_kind:     hidden_remainder_z
      - .offset:         80
        .size:           8
        .value_kind:     hidden_global_offset_x
      - .offset:         88
        .size:           8
        .value_kind:     hidden_global_offset_y
      - .offset:         96
        .size:           8
        .value_kind:     hidden_global_offset_z
      - .offset:         104
        .size:           2
        .value_kind:     hidden_grid_dims
      - .offset:         128
        .size:           8
        .value_kind:     hidden_multigrid_sync_arg
    .group_segment_fixed_size: 0
    .kernarg_segment_align: 8
    .kernarg_segment_size: 296
    .language:       OpenCL C
    .language_version:
      - 2
      - 0
    .max_flat_workgroup_size: 1024
    .name:           _ZL25kernel_cg_grid_group_typePiS_S_S_P4dim3
    .private_segment_fixed_size: 0
    .sgpr_count:     27
    .sgpr_spill_count: 0
    .symbol:         _ZL25kernel_cg_grid_group_typePiS_S_S_P4dim3.kd
    .uniform_work_group_size: 1
    .uses_dynamic_stack: false
    .vgpr_count:     15
    .vgpr_spill_count: 0
    .wavefront_size: 64
  - .agpr_count:     0
    .args:
      - .address_space:  global
        .offset:         0
        .size:           8
        .value_kind:     global_buffer
      - .address_space:  global
        .offset:         8
        .size:           8
        .value_kind:     global_buffer
      - .address_space:  global
        .offset:         16
        .size:           8
        .value_kind:     global_buffer
      - .address_space:  global
        .offset:         24
        .size:           8
        .value_kind:     global_buffer
      - .offset:         32
        .size:           4
        .value_kind:     hidden_block_count_x
      - .offset:         36
        .size:           4
        .value_kind:     hidden_block_count_y
      - .offset:         40
        .size:           4
        .value_kind:     hidden_block_count_z
      - .offset:         44
        .size:           2
        .value_kind:     hidden_group_size_x
      - .offset:         46
        .size:           2
        .value_kind:     hidden_group_size_y
      - .offset:         48
        .size:           2
        .value_kind:     hidden_group_size_z
      - .offset:         50
        .size:           2
        .value_kind:     hidden_remainder_x
      - .offset:         52
        .size:           2
        .value_kind:     hidden_remainder_y
      - .offset:         54
        .size:           2
        .value_kind:     hidden_remainder_z
      - .offset:         72
        .size:           8
        .value_kind:     hidden_global_offset_x
      - .offset:         80
        .size:           8
        .value_kind:     hidden_global_offset_y
      - .offset:         88
        .size:           8
        .value_kind:     hidden_global_offset_z
      - .offset:         96
        .size:           2
        .value_kind:     hidden_grid_dims
      - .offset:         120
        .size:           8
        .value_kind:     hidden_multigrid_sync_arg
    .group_segment_fixed_size: 0
    .kernarg_segment_align: 8
    .kernarg_segment_size: 288
    .language:       OpenCL C
    .language_version:
      - 2
      - 0
    .max_flat_workgroup_size: 1024
    .name:           _ZL39kernel_cg_grid_group_type_via_base_typePiS_S_S_
    .private_segment_fixed_size: 0
    .sgpr_count:     27
    .sgpr_spill_count: 0
    .symbol:         _ZL39kernel_cg_grid_group_type_via_base_typePiS_S_S_.kd
    .uniform_work_group_size: 1
    .uses_dynamic_stack: false
    .vgpr_count:     15
    .vgpr_spill_count: 0
    .wavefront_size: 64
  - .agpr_count:     0
    .args:
      - .address_space:  global
        .offset:         0
        .size:           8
        .value_kind:     global_buffer
      - .address_space:  global
        .offset:         8
        .size:           8
        .value_kind:     global_buffer
      - .address_space:  global
        .offset:         16
        .size:           8
        .value_kind:     global_buffer
      - .address_space:  global
        .offset:         24
        .size:           8
        .value_kind:     global_buffer
      - .address_space:  global
        .offset:         32
        .size:           8
        .value_kind:     global_buffer
      - .offset:         40
        .size:           4
        .value_kind:     hidden_block_count_x
      - .offset:         44
        .size:           4
        .value_kind:     hidden_block_count_y
      - .offset:         48
        .size:           4
        .value_kind:     hidden_block_count_z
      - .offset:         52
        .size:           2
        .value_kind:     hidden_group_size_x
      - .offset:         54
        .size:           2
        .value_kind:     hidden_group_size_y
      - .offset:         56
        .size:           2
        .value_kind:     hidden_group_size_z
      - .offset:         58
        .size:           2
        .value_kind:     hidden_remainder_x
      - .offset:         60
        .size:           2
        .value_kind:     hidden_remainder_y
      - .offset:         62
        .size:           2
        .value_kind:     hidden_remainder_z
      - .offset:         80
        .size:           8
        .value_kind:     hidden_global_offset_x
      - .offset:         88
        .size:           8
        .value_kind:     hidden_global_offset_y
      - .offset:         96
        .size:           8
        .value_kind:     hidden_global_offset_z
      - .offset:         104
        .size:           2
        .value_kind:     hidden_grid_dims
      - .offset:         128
        .size:           8
        .value_kind:     hidden_multigrid_sync_arg
    .group_segment_fixed_size: 0
    .kernarg_segment_align: 8
    .kernarg_segment_size: 296
    .language:       OpenCL C
    .language_version:
      - 2
      - 0
    .max_flat_workgroup_size: 1024
    .name:           _ZL40kernel_cg_grid_group_type_via_public_apiPiS_S_S_P4dim3
    .private_segment_fixed_size: 0
    .sgpr_count:     27
    .sgpr_spill_count: 0
    .symbol:         _ZL40kernel_cg_grid_group_type_via_public_apiPiS_S_S_P4dim3.kd
    .uniform_work_group_size: 1
    .uses_dynamic_stack: false
    .vgpr_count:     15
    .vgpr_spill_count: 0
    .wavefront_size: 64
  - .agpr_count:     0
    .args:
      - .address_space:  global
        .offset:         0
        .size:           8
        .value_kind:     global_buffer
      - .address_space:  global
        .offset:         8
        .size:           8
        .value_kind:     global_buffer
      - .offset:         16
        .size:           4
        .value_kind:     by_value
      - .offset:         20
        .size:           4
        .value_kind:     by_value
      - .offset:         24
        .size:           4
        .value_kind:     hidden_block_count_x
      - .offset:         28
        .size:           4
        .value_kind:     hidden_block_count_y
      - .offset:         32
        .size:           4
        .value_kind:     hidden_block_count_z
      - .offset:         36
        .size:           2
        .value_kind:     hidden_group_size_x
      - .offset:         38
        .size:           2
        .value_kind:     hidden_group_size_y
      - .offset:         40
        .size:           2
        .value_kind:     hidden_group_size_z
      - .offset:         42
        .size:           2
        .value_kind:     hidden_remainder_x
      - .offset:         44
        .size:           2
        .value_kind:     hidden_remainder_y
      - .offset:         46
        .size:           2
        .value_kind:     hidden_remainder_z
      - .offset:         64
        .size:           8
        .value_kind:     hidden_global_offset_x
      - .offset:         72
        .size:           8
        .value_kind:     hidden_global_offset_y
      - .offset:         80
        .size:           8
        .value_kind:     hidden_global_offset_z
      - .offset:         88
        .size:           2
        .value_kind:     hidden_grid_dims
      - .offset:         112
        .size:           8
        .value_kind:     hidden_multigrid_sync_arg
    .group_segment_fixed_size: 0
    .kernarg_segment_align: 8
    .kernarg_segment_size: 280
    .language:       OpenCL C
    .language_version:
      - 2
      - 0
    .max_flat_workgroup_size: 1024
    .name:           _ZL11coop_kernelPjS_jj
    .private_segment_fixed_size: 0
    .sgpr_count:     27
    .sgpr_spill_count: 0
    .symbol:         _ZL11coop_kernelPjS_jj.kd
    .uniform_work_group_size: 1
    .uses_dynamic_stack: false
    .vgpr_count:     12
    .vgpr_spill_count: 0
    .wavefront_size: 64
  - .agpr_count:     0
    .args:
      - .address_space:  global
        .offset:         0
        .size:           8
        .value_kind:     global_buffer
      - .address_space:  global
        .offset:         8
        .size:           8
        .value_kind:     global_buffer
      - .offset:         16
        .size:           4
        .value_kind:     by_value
      - .offset:         24
        .size:           4
        .value_kind:     hidden_block_count_x
      - .offset:         28
        .size:           4
        .value_kind:     hidden_block_count_y
      - .offset:         32
        .size:           4
        .value_kind:     hidden_block_count_z
      - .offset:         36
        .size:           2
        .value_kind:     hidden_group_size_x
      - .offset:         38
        .size:           2
        .value_kind:     hidden_group_size_y
      - .offset:         40
        .size:           2
        .value_kind:     hidden_group_size_z
      - .offset:         42
        .size:           2
        .value_kind:     hidden_remainder_x
      - .offset:         44
        .size:           2
        .value_kind:     hidden_remainder_y
      - .offset:         46
        .size:           2
        .value_kind:     hidden_remainder_z
      - .offset:         64
        .size:           8
        .value_kind:     hidden_global_offset_x
      - .offset:         72
        .size:           8
        .value_kind:     hidden_global_offset_y
      - .offset:         80
        .size:           8
        .value_kind:     hidden_global_offset_z
      - .offset:         88
        .size:           2
        .value_kind:     hidden_grid_dims
      - .offset:         112
        .size:           8
        .value_kind:     hidden_multigrid_sync_arg
    .group_segment_fixed_size: 0
    .kernarg_segment_align: 8
    .kernarg_segment_size: 280
    .language:       OpenCL C
    .language_version:
      - 2
      - 0
    .max_flat_workgroup_size: 1024
    .name:           _ZL11test_kernelPjS_j
    .private_segment_fixed_size: 0
    .sgpr_count:     34
    .sgpr_spill_count: 0
    .symbol:         _ZL11test_kernelPjS_j.kd
    .uniform_work_group_size: 1
    .uses_dynamic_stack: false
    .vgpr_count:     8
    .vgpr_spill_count: 0
    .wavefront_size: 64
  - .agpr_count:     0
    .args:
      - .address_space:  global
        .offset:         0
        .size:           8
        .value_kind:     global_buffer
      - .address_space:  global
        .offset:         8
        .size:           8
        .value_kind:     global_buffer
      - .offset:         16
        .size:           4
        .value_kind:     by_value
      - .offset:         24
        .size:           4
        .value_kind:     hidden_block_count_x
      - .offset:         28
        .size:           4
        .value_kind:     hidden_block_count_y
      - .offset:         32
        .size:           4
        .value_kind:     hidden_block_count_z
      - .offset:         36
        .size:           2
        .value_kind:     hidden_group_size_x
      - .offset:         38
        .size:           2
        .value_kind:     hidden_group_size_y
      - .offset:         40
        .size:           2
        .value_kind:     hidden_group_size_z
      - .offset:         42
        .size:           2
        .value_kind:     hidden_remainder_x
      - .offset:         44
        .size:           2
        .value_kind:     hidden_remainder_y
      - .offset:         46
        .size:           2
        .value_kind:     hidden_remainder_z
      - .offset:         64
        .size:           8
        .value_kind:     hidden_global_offset_x
      - .offset:         72
        .size:           8
        .value_kind:     hidden_global_offset_y
      - .offset:         80
        .size:           8
        .value_kind:     hidden_global_offset_z
      - .offset:         88
        .size:           2
        .value_kind:     hidden_grid_dims
      - .offset:         112
        .size:           8
        .value_kind:     hidden_multigrid_sync_arg
    .group_segment_fixed_size: 0
    .kernarg_segment_align: 8
    .kernarg_segment_size: 280
    .language:       OpenCL C
    .language_version:
      - 2
      - 0
    .max_flat_workgroup_size: 1024
    .name:           _Z17test_kernel_gfx11PjS_j
    .private_segment_fixed_size: 0
    .sgpr_count:     34
    .sgpr_spill_count: 0
    .symbol:         _Z17test_kernel_gfx11PjS_j.kd
    .uniform_work_group_size: 1
    .uses_dynamic_stack: false
    .vgpr_count:     8
    .vgpr_spill_count: 0
    .wavefront_size: 64
amdhsa.target:   amdgcn-amd-amdhsa--gfx950
amdhsa.version:
  - 1
  - 2
...

	.end_amdgpu_metadata
